;; amdgpu-corpus repo=ROCm/rocFFT kind=compiled arch=gfx950 opt=O3
	.text
	.amdgcn_target "amdgcn-amd-amdhsa--gfx950"
	.amdhsa_code_object_version 6
	.protected	fft_rtc_back_len2560_factors_4_4_4_10_4_wgs_128_tpt_128_halfLds_half_ip_CI_unitstride_sbrr_C2R_dirReg ; -- Begin function fft_rtc_back_len2560_factors_4_4_4_10_4_wgs_128_tpt_128_halfLds_half_ip_CI_unitstride_sbrr_C2R_dirReg
	.globl	fft_rtc_back_len2560_factors_4_4_4_10_4_wgs_128_tpt_128_halfLds_half_ip_CI_unitstride_sbrr_C2R_dirReg
	.p2align	8
	.type	fft_rtc_back_len2560_factors_4_4_4_10_4_wgs_128_tpt_128_halfLds_half_ip_CI_unitstride_sbrr_C2R_dirReg,@function
fft_rtc_back_len2560_factors_4_4_4_10_4_wgs_128_tpt_128_halfLds_half_ip_CI_unitstride_sbrr_C2R_dirReg: ; @fft_rtc_back_len2560_factors_4_4_4_10_4_wgs_128_tpt_128_halfLds_half_ip_CI_unitstride_sbrr_C2R_dirReg
; %bb.0:
	s_load_dwordx2 s[8:9], s[0:1], 0x50
	s_load_dwordx4 s[4:7], s[0:1], 0x0
	s_load_dwordx2 s[10:11], s[0:1], 0x18
	v_mov_b32_e32 v6, s2
	v_mov_b32_e32 v4, 0
	v_mov_b32_e32 v7, v4
	s_waitcnt lgkmcnt(0)
	v_cmp_lt_u64_e64 s[2:3], s[6:7], 2
	s_and_b64 vcc, exec, s[2:3]
	v_mov_b64_e32 v[2:3], 0
	s_cbranch_vccnz .LBB0_8
; %bb.1:
	s_load_dwordx2 s[2:3], s[0:1], 0x10
	s_add_u32 s12, s10, 8
	s_addc_u32 s13, s11, 0
	s_mov_b64 s[14:15], 1
	v_mov_b64_e32 v[2:3], 0
	s_waitcnt lgkmcnt(0)
	s_add_u32 s16, s2, 8
	s_addc_u32 s17, s3, 0
.LBB0_2:                                ; =>This Inner Loop Header: Depth=1
	s_load_dwordx2 s[18:19], s[16:17], 0x0
                                        ; implicit-def: $vgpr8_vgpr9
	s_waitcnt lgkmcnt(0)
	v_or_b32_e32 v5, s19, v7
	v_cmp_ne_u64_e32 vcc, 0, v[4:5]
	s_and_saveexec_b64 s[2:3], vcc
	s_xor_b64 s[20:21], exec, s[2:3]
	s_cbranch_execz .LBB0_4
; %bb.3:                                ;   in Loop: Header=BB0_2 Depth=1
	v_cvt_f32_u32_e32 v1, s18
	v_cvt_f32_u32_e32 v5, s19
	s_sub_u32 s2, 0, s18
	s_subb_u32 s3, 0, s19
	v_fmac_f32_e32 v1, 0x4f800000, v5
	v_rcp_f32_e32 v1, v1
	s_nop 0
	v_mul_f32_e32 v1, 0x5f7ffffc, v1
	v_mul_f32_e32 v5, 0x2f800000, v1
	v_trunc_f32_e32 v5, v5
	v_fmac_f32_e32 v1, 0xcf800000, v5
	v_cvt_u32_f32_e32 v5, v5
	v_cvt_u32_f32_e32 v1, v1
	v_mul_lo_u32 v8, s2, v5
	v_mul_hi_u32 v10, s2, v1
	v_mul_lo_u32 v9, s3, v1
	v_add_u32_e32 v10, v10, v8
	v_mul_lo_u32 v12, s2, v1
	v_add_u32_e32 v13, v10, v9
	v_mul_hi_u32 v8, v1, v12
	v_mul_hi_u32 v11, v1, v13
	v_mul_lo_u32 v10, v1, v13
	v_mov_b32_e32 v9, v4
	v_lshl_add_u64 v[8:9], v[8:9], 0, v[10:11]
	v_mul_hi_u32 v11, v5, v12
	v_mul_lo_u32 v12, v5, v12
	v_add_co_u32_e32 v8, vcc, v8, v12
	v_mul_hi_u32 v10, v5, v13
	s_nop 0
	v_addc_co_u32_e32 v8, vcc, v9, v11, vcc
	v_mov_b32_e32 v9, v4
	s_nop 0
	v_addc_co_u32_e32 v11, vcc, 0, v10, vcc
	v_mul_lo_u32 v10, v5, v13
	v_lshl_add_u64 v[8:9], v[8:9], 0, v[10:11]
	v_add_co_u32_e32 v1, vcc, v1, v8
	v_mul_lo_u32 v10, s2, v1
	s_nop 0
	v_addc_co_u32_e32 v5, vcc, v5, v9, vcc
	v_mul_lo_u32 v8, s2, v5
	v_mul_hi_u32 v9, s2, v1
	v_add_u32_e32 v8, v9, v8
	v_mul_lo_u32 v9, s3, v1
	v_add_u32_e32 v12, v8, v9
	v_mul_hi_u32 v14, v5, v10
	v_mul_lo_u32 v15, v5, v10
	v_mul_hi_u32 v9, v1, v12
	v_mul_lo_u32 v8, v1, v12
	v_mul_hi_u32 v10, v1, v10
	v_mov_b32_e32 v11, v4
	v_lshl_add_u64 v[8:9], v[10:11], 0, v[8:9]
	v_add_co_u32_e32 v8, vcc, v8, v15
	v_mul_hi_u32 v13, v5, v12
	s_nop 0
	v_addc_co_u32_e32 v8, vcc, v9, v14, vcc
	v_mul_lo_u32 v10, v5, v12
	s_nop 0
	v_addc_co_u32_e32 v11, vcc, 0, v13, vcc
	v_mov_b32_e32 v9, v4
	v_lshl_add_u64 v[8:9], v[8:9], 0, v[10:11]
	v_add_co_u32_e32 v1, vcc, v1, v8
	v_mul_hi_u32 v10, v6, v1
	s_nop 0
	v_addc_co_u32_e32 v5, vcc, v5, v9, vcc
	v_mad_u64_u32 v[8:9], s[2:3], v6, v5, 0
	v_mov_b32_e32 v11, v4
	v_lshl_add_u64 v[8:9], v[10:11], 0, v[8:9]
	v_mad_u64_u32 v[12:13], s[2:3], v7, v1, 0
	v_add_co_u32_e32 v1, vcc, v8, v12
	v_mad_u64_u32 v[10:11], s[2:3], v7, v5, 0
	s_nop 0
	v_addc_co_u32_e32 v8, vcc, v9, v13, vcc
	v_mov_b32_e32 v9, v4
	s_nop 0
	v_addc_co_u32_e32 v11, vcc, 0, v11, vcc
	v_lshl_add_u64 v[8:9], v[8:9], 0, v[10:11]
	v_mul_lo_u32 v1, s19, v8
	v_mul_lo_u32 v5, s18, v9
	v_mad_u64_u32 v[10:11], s[2:3], s18, v8, 0
	v_add3_u32 v1, v11, v5, v1
	v_sub_u32_e32 v5, v7, v1
	v_mov_b32_e32 v11, s19
	v_sub_co_u32_e32 v14, vcc, v6, v10
	v_lshl_add_u64 v[12:13], v[8:9], 0, 1
	s_nop 0
	v_subb_co_u32_e64 v5, s[2:3], v5, v11, vcc
	v_subrev_co_u32_e64 v10, s[2:3], s18, v14
	v_subb_co_u32_e32 v1, vcc, v7, v1, vcc
	s_nop 0
	v_subbrev_co_u32_e64 v5, s[2:3], 0, v5, s[2:3]
	v_cmp_le_u32_e64 s[2:3], s19, v5
	v_cmp_le_u32_e32 vcc, s19, v1
	s_nop 0
	v_cndmask_b32_e64 v11, 0, -1, s[2:3]
	v_cmp_le_u32_e64 s[2:3], s18, v10
	s_nop 1
	v_cndmask_b32_e64 v10, 0, -1, s[2:3]
	v_cmp_eq_u32_e64 s[2:3], s19, v5
	s_nop 1
	v_cndmask_b32_e64 v5, v11, v10, s[2:3]
	v_lshl_add_u64 v[10:11], v[8:9], 0, 2
	v_cmp_ne_u32_e64 s[2:3], 0, v5
	s_nop 1
	v_cndmask_b32_e64 v5, v13, v11, s[2:3]
	v_cndmask_b32_e64 v11, 0, -1, vcc
	v_cmp_le_u32_e32 vcc, s18, v14
	s_nop 1
	v_cndmask_b32_e64 v13, 0, -1, vcc
	v_cmp_eq_u32_e32 vcc, s19, v1
	s_nop 1
	v_cndmask_b32_e32 v1, v11, v13, vcc
	v_cmp_ne_u32_e32 vcc, 0, v1
	v_cndmask_b32_e64 v1, v12, v10, s[2:3]
	s_nop 0
	v_cndmask_b32_e32 v9, v9, v5, vcc
	v_cndmask_b32_e32 v8, v8, v1, vcc
.LBB0_4:                                ;   in Loop: Header=BB0_2 Depth=1
	s_andn2_saveexec_b64 s[2:3], s[20:21]
	s_cbranch_execz .LBB0_6
; %bb.5:                                ;   in Loop: Header=BB0_2 Depth=1
	v_cvt_f32_u32_e32 v1, s18
	s_sub_i32 s20, 0, s18
	v_rcp_iflag_f32_e32 v1, v1
	s_nop 0
	v_mul_f32_e32 v1, 0x4f7ffffe, v1
	v_cvt_u32_f32_e32 v1, v1
	v_mul_lo_u32 v5, s20, v1
	v_mul_hi_u32 v5, v1, v5
	v_add_u32_e32 v1, v1, v5
	v_mul_hi_u32 v1, v6, v1
	v_mul_lo_u32 v5, v1, s18
	v_sub_u32_e32 v5, v6, v5
	v_add_u32_e32 v8, 1, v1
	v_subrev_u32_e32 v9, s18, v5
	v_cmp_le_u32_e32 vcc, s18, v5
	s_nop 1
	v_cndmask_b32_e32 v5, v5, v9, vcc
	v_cndmask_b32_e32 v1, v1, v8, vcc
	v_add_u32_e32 v8, 1, v1
	v_cmp_le_u32_e32 vcc, s18, v5
	v_mov_b32_e32 v9, v4
	s_nop 0
	v_cndmask_b32_e32 v8, v1, v8, vcc
.LBB0_6:                                ;   in Loop: Header=BB0_2 Depth=1
	s_or_b64 exec, exec, s[2:3]
	v_mad_u64_u32 v[10:11], s[2:3], v8, s18, 0
	s_load_dwordx2 s[2:3], s[12:13], 0x0
	v_mul_lo_u32 v1, v9, s18
	v_mul_lo_u32 v5, v8, s19
	v_add3_u32 v1, v11, v5, v1
	v_sub_co_u32_e32 v5, vcc, v6, v10
	s_add_u32 s14, s14, 1
	s_nop 0
	v_subb_co_u32_e32 v1, vcc, v7, v1, vcc
	s_addc_u32 s15, s15, 0
	s_waitcnt lgkmcnt(0)
	v_mul_lo_u32 v1, s2, v1
	v_mul_lo_u32 v6, s3, v5
	v_mad_u64_u32 v[2:3], s[2:3], s2, v5, v[2:3]
	s_add_u32 s12, s12, 8
	v_add3_u32 v3, v6, v3, v1
	s_addc_u32 s13, s13, 0
	v_mov_b64_e32 v[6:7], s[6:7]
	s_add_u32 s16, s16, 8
	v_cmp_ge_u64_e32 vcc, s[14:15], v[6:7]
	s_addc_u32 s17, s17, 0
	s_cbranch_vccnz .LBB0_9
; %bb.7:                                ;   in Loop: Header=BB0_2 Depth=1
	v_mov_b64_e32 v[6:7], v[8:9]
	s_branch .LBB0_2
.LBB0_8:
	v_mov_b64_e32 v[8:9], v[6:7]
.LBB0_9:
	s_lshl_b64 s[2:3], s[6:7], 3
	s_add_u32 s2, s10, s2
	s_addc_u32 s3, s11, s3
	s_load_dwordx2 s[6:7], s[2:3], 0x0
	s_load_dwordx2 s[10:11], s[0:1], 0x20
	s_waitcnt lgkmcnt(0)
	v_mul_lo_u32 v1, s6, v9
	v_mul_lo_u32 v4, s7, v8
	v_mad_u64_u32 v[2:3], s[0:1], s6, v8, v[2:3]
	v_add3_u32 v3, v4, v3, v1
	v_cmp_gt_u64_e64 s[0:1], s[10:11], v[8:9]
	v_lshl_add_u64 v[2:3], v[2:3], 2, s[8:9]
	v_mov_b32_e32 v4, v0
	s_and_saveexec_b64 s[2:3], s[0:1]
	s_cbranch_execz .LBB0_13
; %bb.10:
	v_lshlrev_b32_e32 v4, 2, v0
	v_mov_b32_e32 v5, 0
	v_lshl_add_u64 v[6:7], v[2:3], 0, v[4:5]
	v_or_b32_e32 v8, 0xe00, v4
	v_mov_b32_e32 v9, v5
	v_lshl_add_u64 v[10:11], v[2:3], 0, v[8:9]
	global_load_dword v9, v[6:7], off
	global_load_dword v26, v[6:7], off offset:512
	global_load_dword v27, v[6:7], off offset:1024
	;; [unrolled: 1-line block ×6, first 2 shown]
	global_load_dword v32, v[10:11], off
	v_or_b32_e32 v6, 0x1000, v4
	v_mov_b32_e32 v7, v5
	v_lshl_add_u64 v[6:7], v[2:3], 0, v[6:7]
	v_or_b32_e32 v10, 0x1200, v4
	v_mov_b32_e32 v11, v5
	v_or_b32_e32 v12, 0x1400, v4
	v_mov_b32_e32 v13, v5
	v_or_b32_e32 v14, 0x1600, v4
	v_mov_b32_e32 v15, v5
	v_or_b32_e32 v16, 0x1800, v4
	v_mov_b32_e32 v17, v5
	v_or_b32_e32 v18, 0x1a00, v4
	v_mov_b32_e32 v19, v5
	v_or_b32_e32 v20, 0x1c00, v4
	v_mov_b32_e32 v21, v5
	v_or_b32_e32 v22, 0x1e00, v4
	v_mov_b32_e32 v23, v5
	v_lshl_add_u64 v[10:11], v[2:3], 0, v[10:11]
	v_lshl_add_u64 v[12:13], v[2:3], 0, v[12:13]
	;; [unrolled: 1-line block ×7, first 2 shown]
	global_load_dword v23, v[6:7], off
	global_load_dword v33, v[10:11], off
	;; [unrolled: 1-line block ×8, first 2 shown]
	v_or_b32_e32 v6, 0x2000, v4
	v_mov_b32_e32 v7, v5
	v_add_u32_e32 v1, 0, v4
	v_lshl_add_u64 v[6:7], v[2:3], 0, v[6:7]
	v_or_b32_e32 v10, 0x2200, v4
	v_mov_b32_e32 v11, v5
	v_or_b32_e32 v12, 0x2400, v4
	v_mov_b32_e32 v13, v5
	v_or_b32_e32 v4, 0x2600, v4
	v_lshl_add_u64 v[10:11], v[2:3], 0, v[10:11]
	v_lshl_add_u64 v[12:13], v[2:3], 0, v[12:13]
	;; [unrolled: 1-line block ×3, first 2 shown]
	global_load_dword v4, v[6:7], off
	global_load_dword v16, v[10:11], off
	;; [unrolled: 1-line block ×4, first 2 shown]
	s_movk_i32 s6, 0x7f
	v_cmp_eq_u32_e32 vcc, s6, v0
	v_add_u32_e32 v6, 0, v8
	v_add_u32_e32 v7, 0, v22
	s_waitcnt vmcnt(18)
	ds_write2st64_b32 v1, v9, v26 offset1:2
	s_waitcnt vmcnt(16)
	ds_write2st64_b32 v1, v27, v28 offset0:4 offset1:6
	s_waitcnt vmcnt(14)
	ds_write2st64_b32 v1, v29, v30 offset0:8 offset1:10
	s_waitcnt vmcnt(12)
	ds_write_b32 v6, v32
	s_waitcnt vmcnt(11)
	ds_write2st64_b32 v1, v31, v23 offset0:12 offset1:16
	s_waitcnt vmcnt(9)
	ds_write2st64_b32 v1, v33, v34 offset0:18 offset1:20
	s_waitcnt vmcnt(7)
	ds_write2st64_b32 v1, v35, v36 offset0:22 offset1:24
	s_waitcnt vmcnt(5)
	ds_write2st64_b32 v1, v37, v38 offset0:26 offset1:28
	s_waitcnt vmcnt(4)
	ds_write_b32 v7, v39
	s_waitcnt vmcnt(2)
	ds_write2st64_b32 v1, v4, v16 offset0:32 offset1:34
	s_waitcnt vmcnt(0)
	ds_write2st64_b32 v1, v17, v18 offset0:36 offset1:38
	v_mov_b32_e32 v4, v0
	s_and_saveexec_b64 s[6:7], vcc
	s_cbranch_execz .LBB0_12
; %bb.11:
	v_add_co_u32_e32 v6, vcc, 0x2000, v2
	v_mov_b32_e32 v4, 0x7f
	s_nop 0
	v_addc_co_u32_e32 v7, vcc, 0, v3, vcc
	global_load_dword v1, v[6:7], off offset:2048
	s_waitcnt vmcnt(0)
	ds_write_b32 v5, v1 offset:10240
.LBB0_12:
	s_or_b64 exec, exec, s[6:7]
.LBB0_13:
	s_or_b64 exec, exec, s[2:3]
	v_lshlrev_b32_e32 v1, 2, v4
	v_add_u32_e32 v8, 0, v1
	s_waitcnt lgkmcnt(0)
	s_barrier
	v_sub_u32_e32 v9, 0, v1
	ds_read_u16 v12, v8
	ds_read_u16 v13, v9 offset:10240
	s_add_u32 s2, s4, 0x27f0
	s_addc_u32 s3, s5, 0
	v_cmp_ne_u32_e32 vcc, 0, v4
                                        ; implicit-def: $vgpr6_vgpr7
	s_waitcnt lgkmcnt(0)
	v_add_f16_e32 v10, v13, v12
	v_sub_f16_e32 v11, v12, v13
	s_and_saveexec_b64 s[6:7], vcc
	s_xor_b64 s[6:7], exec, s[6:7]
	s_cbranch_execz .LBB0_15
; %bb.14:
	global_load_dword v6, v1, s[2:3]
	ds_read_u16 v7, v9 offset:10242
	ds_read_u16 v10, v8 offset:2
	v_add_f16_e32 v11, v13, v12
	v_sub_f16_e32 v12, v12, v13
	v_mov_b32_e32 v5, 0
	s_waitcnt lgkmcnt(0)
	v_add_f16_e32 v13, v7, v10
	v_sub_f16_e32 v7, v10, v7
	s_waitcnt vmcnt(0)
	v_lshrrev_b32_e32 v10, 16, v6
	v_fma_f16 v14, v12, v10, v11
	v_fma_f16 v15, v13, v10, v7
	v_fma_f16 v16, -v12, v10, v11
	v_fma_f16 v7, v13, v10, -v7
	v_fma_f16 v10, -v6, v13, v14
	v_fma_f16 v11, v12, v6, v15
	v_fma_f16 v13, v6, v13, v16
	;; [unrolled: 1-line block ×3, first 2 shown]
	v_pack_b32_f16 v6, v13, v6
	ds_write_b32 v9, v6 offset:10240
	v_mov_b64_e32 v[6:7], v[4:5]
.LBB0_15:
	s_andn2_saveexec_b64 s[6:7], s[6:7]
	s_cbranch_execz .LBB0_17
; %bb.16:
	v_mov_b32_e32 v5, 0
	ds_read_b32 v6, v5 offset:5120
	s_mov_b32 s8, 0xc0004000
	s_waitcnt lgkmcnt(0)
	v_pk_mul_f16 v6, v6, s8
	ds_write_b32 v5, v6 offset:5120
	v_mov_b64_e32 v[6:7], 0
.LBB0_17:
	s_or_b64 exec, exec, s[6:7]
	v_lshl_add_u64 v[6:7], v[6:7], 2, s[2:3]
	global_load_dword v5, v[6:7], off offset:512
	global_load_dword v12, v[6:7], off offset:1024
	;; [unrolled: 1-line block ×4, first 2 shown]
	s_mov_b32 s6, 0x5040100
	v_perm_b32 v10, v11, v10, s6
	v_mov_b32_e32 v15, 0xe00
	ds_write_b32 v8, v10
	v_lshl_or_b32 v11, v0, 2, v15
	ds_read_b32 v10, v8 offset:512
	ds_read_b32 v15, v9 offset:9728
	v_or_b32_e32 v16, 0x1000, v1
	global_load_dword v17, v[6:7], off offset:2560
	global_load_dword v18, v[6:7], off offset:3072
	global_load_dword v19, v11, s[2:3]
	global_load_dword v20, v16, s[2:3]
	s_mov_b32 s8, 0xbb9c
	s_mov_b32 s7, 0xb8b4
	s_waitcnt lgkmcnt(0)
	v_add_f16_e32 v6, v10, v15
	v_add_f16_sdwa v7, v15, v10 dst_sel:DWORD dst_unused:UNUSED_PAD src0_sel:WORD_1 src1_sel:WORD_1
	v_sub_f16_e32 v16, v10, v15
	v_sub_f16_sdwa v10, v10, v15 dst_sel:DWORD dst_unused:UNUSED_PAD src0_sel:WORD_1 src1_sel:WORD_1
	s_movk_i32 s6, 0x34f2
	s_mov_b32 s11, 0xba79
	s_mov_b32 s10, 0xb4f2
	s_movk_i32 s9, 0x3a79
	s_waitcnt vmcnt(7)
	v_lshrrev_b32_e32 v15, 16, v5
	v_fma_f16 v21, v16, v15, v6
	v_fma_f16 v22, v7, v15, v10
	v_fma_f16 v6, -v16, v15, v6
	v_fma_f16 v10, v7, v15, -v10
	v_fma_f16 v15, -v5, v7, v21
	v_fma_f16 v21, v16, v5, v22
	v_fma_f16 v6, v5, v7, v6
	;; [unrolled: 1-line block ×3, first 2 shown]
	v_pack_b32_f16 v7, v15, v21
	v_pack_b32_f16 v5, v6, v5
	ds_write_b32 v8, v7 offset:512
	ds_write_b32 v9, v5 offset:9728
	ds_read_b32 v5, v8 offset:1024
	ds_read_b32 v6, v9 offset:9216
	s_waitcnt vmcnt(6)
	v_lshrrev_b32_e32 v7, 16, v12
	v_mad_u32_u24 v22, v4, 12, v8
	s_waitcnt lgkmcnt(0)
	v_add_f16_e32 v10, v5, v6
	v_add_f16_sdwa v15, v6, v5 dst_sel:DWORD dst_unused:UNUSED_PAD src0_sel:WORD_1 src1_sel:WORD_1
	v_sub_f16_e32 v16, v5, v6
	v_sub_f16_sdwa v5, v5, v6 dst_sel:DWORD dst_unused:UNUSED_PAD src0_sel:WORD_1 src1_sel:WORD_1
	v_fma_f16 v6, v16, v7, v10
	v_fma_f16 v21, v15, v7, v5
	v_fma_f16 v10, -v16, v7, v10
	v_fma_f16 v5, v15, v7, -v5
	v_fma_f16 v6, -v12, v15, v6
	v_fma_f16 v7, v16, v12, v21
	v_fma_f16 v10, v12, v15, v10
	;; [unrolled: 1-line block ×3, first 2 shown]
	v_pack_b32_f16 v6, v6, v7
	v_pack_b32_f16 v5, v10, v5
	ds_write_b32 v8, v6 offset:1024
	ds_write_b32 v9, v5 offset:9216
	ds_read_b32 v5, v8 offset:1536
	ds_read_b32 v6, v9 offset:8704
	s_waitcnt vmcnt(5)
	v_lshrrev_b32_e32 v7, 16, v13
	v_or_b32_e32 v21, 0x180, v4
	v_lshl_add_u32 v39, v21, 4, 0
	s_waitcnt lgkmcnt(0)
	v_add_f16_e32 v10, v5, v6
	v_add_f16_sdwa v12, v6, v5 dst_sel:DWORD dst_unused:UNUSED_PAD src0_sel:WORD_1 src1_sel:WORD_1
	v_sub_f16_e32 v15, v5, v6
	v_sub_f16_sdwa v5, v5, v6 dst_sel:DWORD dst_unused:UNUSED_PAD src0_sel:WORD_1 src1_sel:WORD_1
	v_fma_f16 v6, v15, v7, v10
	v_fma_f16 v16, v12, v7, v5
	v_fma_f16 v10, -v15, v7, v10
	v_fma_f16 v5, v12, v7, -v5
	v_fma_f16 v6, -v13, v12, v6
	v_fma_f16 v7, v15, v13, v16
	v_fma_f16 v10, v13, v12, v10
	;; [unrolled: 1-line block ×3, first 2 shown]
	v_pack_b32_f16 v6, v6, v7
	v_pack_b32_f16 v5, v10, v5
	ds_write_b32 v8, v6 offset:1536
	ds_write_b32 v9, v5 offset:8704
	ds_read_b32 v5, v8 offset:2048
	ds_read_b32 v6, v9 offset:8192
	s_waitcnt vmcnt(4)
	v_lshrrev_b32_e32 v7, 16, v14
	s_waitcnt lgkmcnt(0)
	v_add_f16_e32 v10, v5, v6
	v_add_f16_sdwa v12, v6, v5 dst_sel:DWORD dst_unused:UNUSED_PAD src0_sel:WORD_1 src1_sel:WORD_1
	v_sub_f16_e32 v13, v5, v6
	v_sub_f16_sdwa v5, v5, v6 dst_sel:DWORD dst_unused:UNUSED_PAD src0_sel:WORD_1 src1_sel:WORD_1
	v_fma_f16 v6, v13, v7, v10
	v_fma_f16 v15, v12, v7, v5
	v_fma_f16 v10, -v13, v7, v10
	v_fma_f16 v5, v12, v7, -v5
	v_fma_f16 v6, -v14, v12, v6
	v_fma_f16 v7, v13, v14, v15
	v_fma_f16 v10, v14, v12, v10
	;; [unrolled: 1-line block ×3, first 2 shown]
	v_pack_b32_f16 v6, v6, v7
	v_pack_b32_f16 v5, v10, v5
	ds_write_b32 v8, v6 offset:2048
	ds_write_b32 v9, v5 offset:8192
	v_or_b32_e32 v7, 0x1200, v1
	ds_read_b32 v5, v8 offset:2560
	ds_read_b32 v6, v9 offset:7680
	global_load_dword v7, v7, s[2:3]
	s_waitcnt vmcnt(4)
	v_lshrrev_b32_e32 v10, 16, v17
	s_movk_i32 s2, 0x1f0
	s_movk_i32 s3, 0x3b9c
	s_waitcnt lgkmcnt(0)
	v_add_f16_e32 v12, v5, v6
	v_add_f16_sdwa v13, v6, v5 dst_sel:DWORD dst_unused:UNUSED_PAD src0_sel:WORD_1 src1_sel:WORD_1
	v_sub_f16_e32 v14, v5, v6
	v_sub_f16_sdwa v5, v5, v6 dst_sel:DWORD dst_unused:UNUSED_PAD src0_sel:WORD_1 src1_sel:WORD_1
	v_fma_f16 v6, v14, v10, v12
	v_fma_f16 v15, v13, v10, v5
	v_fma_f16 v12, -v14, v10, v12
	v_fma_f16 v5, v13, v10, -v5
	v_fma_f16 v6, -v17, v13, v6
	v_fma_f16 v10, v14, v17, v15
	v_fma_f16 v12, v17, v13, v12
	;; [unrolled: 1-line block ×3, first 2 shown]
	v_pack_b32_f16 v6, v6, v10
	v_pack_b32_f16 v5, v12, v5
	ds_write_b32 v8, v6 offset:2560
	ds_write_b32 v9, v5 offset:7680
	ds_read_b32 v5, v8 offset:3072
	ds_read_b32 v6, v9 offset:7168
	v_add_u32_e32 v10, 0, v11
	s_waitcnt vmcnt(3)
	v_lshrrev_b32_e32 v11, 16, v18
	s_waitcnt lgkmcnt(0)
	v_add_f16_e32 v12, v5, v6
	v_add_f16_sdwa v13, v6, v5 dst_sel:DWORD dst_unused:UNUSED_PAD src0_sel:WORD_1 src1_sel:WORD_1
	v_sub_f16_e32 v14, v5, v6
	v_sub_f16_sdwa v5, v5, v6 dst_sel:DWORD dst_unused:UNUSED_PAD src0_sel:WORD_1 src1_sel:WORD_1
	v_fma_f16 v6, v14, v11, v12
	v_fma_f16 v15, v13, v11, v5
	v_fma_f16 v12, -v14, v11, v12
	v_fma_f16 v5, v13, v11, -v5
	v_fma_f16 v6, -v18, v13, v6
	v_fma_f16 v11, v14, v18, v15
	v_fma_f16 v12, v18, v13, v12
	;; [unrolled: 1-line block ×3, first 2 shown]
	v_pack_b32_f16 v6, v6, v11
	v_pack_b32_f16 v5, v12, v5
	ds_write_b32 v8, v6 offset:3072
	ds_write_b32 v9, v5 offset:7168
	ds_read_b32 v5, v10
	ds_read_b32 v6, v9 offset:6656
	s_waitcnt vmcnt(2)
	v_lshrrev_b32_e32 v11, 16, v19
	s_waitcnt lgkmcnt(0)
	v_add_f16_e32 v12, v5, v6
	v_add_f16_sdwa v13, v6, v5 dst_sel:DWORD dst_unused:UNUSED_PAD src0_sel:WORD_1 src1_sel:WORD_1
	v_sub_f16_e32 v14, v5, v6
	v_sub_f16_sdwa v5, v5, v6 dst_sel:DWORD dst_unused:UNUSED_PAD src0_sel:WORD_1 src1_sel:WORD_1
	v_fma_f16 v6, v14, v11, v12
	v_fma_f16 v15, v13, v11, v5
	v_fma_f16 v6, -v19, v13, v6
	v_fma_f16 v15, v14, v19, v15
	v_fma_f16 v12, -v14, v11, v12
	v_pack_b32_f16 v6, v6, v15
	v_fma_f16 v5, v13, v11, -v5
	ds_write_b32 v10, v6
	v_fma_f16 v6, v19, v13, v12
	v_fma_f16 v5, v14, v19, v5
	v_pack_b32_f16 v5, v6, v5
	ds_write_b32 v9, v5 offset:6656
	ds_read_b32 v5, v8 offset:4096
	ds_read_b32 v6, v9 offset:6144
	s_waitcnt lgkmcnt(0)
	v_add_f16_e32 v10, v5, v6
	v_add_f16_sdwa v11, v6, v5 dst_sel:DWORD dst_unused:UNUSED_PAD src0_sel:WORD_1 src1_sel:WORD_1
	v_sub_f16_e32 v12, v5, v6
	v_sub_f16_sdwa v5, v5, v6 dst_sel:DWORD dst_unused:UNUSED_PAD src0_sel:WORD_1 src1_sel:WORD_1
	s_waitcnt vmcnt(1)
	v_lshrrev_b32_e32 v6, 16, v20
	v_fma_f16 v13, v12, v6, v10
	v_fma_f16 v14, v11, v6, v5
	v_fma_f16 v10, -v12, v6, v10
	v_fma_f16 v5, v11, v6, -v5
	v_fma_f16 v13, -v20, v11, v13
	v_fma_f16 v14, v12, v20, v14
	v_fma_f16 v10, v20, v11, v10
	;; [unrolled: 1-line block ×3, first 2 shown]
	v_pack_b32_f16 v13, v13, v14
	v_pack_b32_f16 v5, v10, v5
	ds_write_b32 v8, v13 offset:4096
	ds_write_b32 v9, v5 offset:6144
	ds_read_b32 v6, v8 offset:4608
	ds_read_b32 v10, v9 offset:5632
	v_or_b32_e32 v20, 0x100, v4
	v_lshl_add_u32 v34, v20, 4, 0
	v_or_b32_e32 v5, 0x80, v4
	v_lshl_add_u32 v27, v5, 4, 0
	s_waitcnt lgkmcnt(0)
	v_add_f16_e32 v11, v6, v10
	v_add_f16_sdwa v12, v10, v6 dst_sel:DWORD dst_unused:UNUSED_PAD src0_sel:WORD_1 src1_sel:WORD_1
	v_sub_f16_e32 v13, v6, v10
	v_sub_f16_sdwa v6, v6, v10 dst_sel:DWORD dst_unused:UNUSED_PAD src0_sel:WORD_1 src1_sel:WORD_1
	s_waitcnt vmcnt(0)
	v_lshrrev_b32_e32 v10, 16, v7
	v_fma_f16 v14, v13, v10, v11
	v_fma_f16 v15, v12, v10, v6
	v_fma_f16 v11, -v13, v10, v11
	v_fma_f16 v6, v12, v10, -v6
	v_fma_f16 v14, -v7, v12, v14
	v_fma_f16 v15, v13, v7, v15
	v_fma_f16 v11, v7, v12, v11
	;; [unrolled: 1-line block ×3, first 2 shown]
	v_pack_b32_f16 v14, v14, v15
	v_pack_b32_f16 v6, v11, v6
	ds_write_b32 v8, v14 offset:4608
	ds_write_b32 v9, v6 offset:5632
	s_waitcnt lgkmcnt(0)
	s_barrier
	s_barrier
	ds_read2st64_b32 v[6:7], v8 offset1:2
	ds_read2st64_b32 v[10:11], v8 offset0:20 offset1:22
	ds_read2st64_b32 v[12:13], v8 offset0:8 offset1:10
	;; [unrolled: 1-line block ×3, first 2 shown]
	v_or_b32_e32 v9, 0x200, v4
	s_waitcnt lgkmcnt(2)
	v_pk_add_f16 v10, v6, v10 neg_lo:[0,1] neg_hi:[0,1]
	s_nop 0
	v_pk_fma_f16 v6, v6, 2.0, v10 op_sel_hi:[1,0,1] neg_lo:[0,0,1] neg_hi:[0,0,1]
	s_waitcnt lgkmcnt(0)
	v_pk_add_f16 v15, v13, v15 neg_lo:[0,1] neg_hi:[0,1]
	v_alignbit_b32 v16, s0, v10, 16
	v_pk_fma_f16 v13, v13, 2.0, v15 op_sel_hi:[1,0,1] neg_lo:[0,0,1] neg_hi:[0,0,1]
	v_pk_add_f16 v28, v7, v11 neg_lo:[0,1] neg_hi:[0,1]
	v_pk_add_f16 v13, v6, v13 neg_lo:[0,1] neg_hi:[0,1]
	v_alignbit_b32 v32, s0, v28, 16
	v_pk_fma_f16 v23, v6, 2.0, v13 op_sel_hi:[1,0,1] neg_lo:[0,0,1] neg_hi:[0,0,1]
	v_alignbit_b32 v6, s0, v15, 16
	v_pk_add_f16 v15, v16, v15 neg_lo:[0,1] neg_hi:[0,1]
	ds_read2st64_b32 v[16:17], v8 offset0:12 offset1:14
	ds_read2st64_b32 v[18:19], v8 offset0:32 offset1:34
	v_pk_add_f16 v24, v10, v6
	v_lshrrev_b32_e32 v6, 16, v10
	v_fma_f16 v26, v6, 2.0, -v15
	v_pk_fma_f16 v6, v7, 2.0, v28 op_sel_hi:[1,0,1] neg_lo:[0,0,1] neg_hi:[0,0,1]
	s_waitcnt lgkmcnt(0)
	v_pk_add_f16 v18, v16, v18 neg_lo:[0,1] neg_hi:[0,1]
	v_fma_f16 v25, v10, 2.0, -v24
	v_pk_fma_f16 v7, v16, 2.0, v18 op_sel_hi:[1,0,1] neg_lo:[0,0,1] neg_hi:[0,0,1]
	v_lshrrev_b32_e32 v16, 16, v28
	v_pk_add_f16 v29, v6, v7 neg_lo:[0,1] neg_hi:[0,1]
	v_pk_add_f16 v32, v32, v18 neg_lo:[0,1] neg_hi:[0,1]
	v_pk_fma_f16 v30, v6, 2.0, v29 op_sel_hi:[1,0,1] neg_lo:[0,0,1] neg_hi:[0,0,1]
	v_alignbit_b32 v6, s0, v18, 16
	v_pk_add_f16 v31, v28, v6
	ds_read2st64_b32 v[6:7], v8 offset0:4 offset1:6
	ds_read2st64_b32 v[10:11], v8 offset0:24 offset1:26
	v_fma_f16 v33, v16, 2.0, -v32
	v_pk_add_f16 v16, v17, v19 neg_lo:[0,1] neg_hi:[0,1]
	v_pk_add_f16 v14, v12, v14 neg_lo:[0,1] neg_hi:[0,1]
	v_pk_fma_f16 v17, v17, 2.0, v16 op_sel_hi:[1,0,1] neg_lo:[0,0,1] neg_hi:[0,0,1]
	s_waitcnt lgkmcnt(0)
	v_pk_add_f16 v10, v6, v10 neg_lo:[0,1] neg_hi:[0,1]
	v_pk_add_f16 v11, v7, v11 neg_lo:[0,1] neg_hi:[0,1]
	v_pk_fma_f16 v6, v6, 2.0, v10 op_sel_hi:[1,0,1] neg_lo:[0,0,1] neg_hi:[0,0,1]
	v_lshrrev_b32_e32 v37, 16, v10
	v_pk_add_f16 v35, v6, v17 neg_lo:[0,1] neg_hi:[0,1]
	v_alignbit_b32 v17, s0, v16, 16
	v_pk_add_f16 v36, v10, v17
	v_alignbit_b32 v17, s0, v10, 16
	v_pk_add_f16 v38, v17, v16 neg_lo:[0,1] neg_hi:[0,1]
	ds_read2st64_b32 v[16:17], v8 offset0:16 offset1:18
	ds_read2st64_b32 v[18:19], v8 offset0:36 offset1:38
	v_fma_f16 v10, v10, 2.0, -v36
	v_fma_f16 v37, v37, 2.0, -v38
	v_alignbit_b32 v42, s0, v11, 16
	v_pk_fma_f16 v6, v6, 2.0, v35 op_sel_hi:[1,0,1] neg_lo:[0,0,1] neg_hi:[0,0,1]
	s_waitcnt lgkmcnt(0)
	v_pk_add_f16 v18, v16, v18 neg_lo:[0,1] neg_hi:[0,1]
	v_pk_fma_f16 v7, v7, 2.0, v11 op_sel_hi:[1,0,1] neg_lo:[0,0,1] neg_hi:[0,0,1]
	v_alignbit_b32 v40, s0, v18, 16
	v_pk_fma_f16 v16, v16, 2.0, v18 op_sel_hi:[1,0,1] neg_lo:[0,0,1] neg_hi:[0,0,1]
	v_pk_add_f16 v40, v11, v40
	v_lshrrev_b32_e32 v41, 16, v11
	v_pk_add_f16 v18, v42, v18 neg_lo:[0,1] neg_hi:[0,1]
	v_pk_add_f16 v19, v17, v19 neg_lo:[0,1] neg_hi:[0,1]
	v_pack_b32_f16 v25, v25, v26
	v_pack_b32_f16 v15, v24, v15
	;; [unrolled: 1-line block ×3, first 2 shown]
	v_pk_add_f16 v16, v7, v16 neg_lo:[0,1] neg_hi:[0,1]
	v_fma_f16 v11, v11, 2.0, -v40
	v_fma_f16 v41, v41, 2.0, -v18
	v_alignbit_b32 v43, s0, v19, 16
	v_alignbit_b32 v45, s0, v14, 16
	s_barrier
	ds_write2_b32 v22, v23, v25 offset1:1
	ds_write2_b32 v22, v13, v15 offset0:2 offset1:3
	ds_write2_b32 v34, v6, v10 offset1:1
	v_pack_b32_f16 v6, v36, v38
	v_fma_f16 v28, v28, 2.0, -v31
	v_pk_fma_f16 v7, v7, 2.0, v16 op_sel_hi:[1,0,1] neg_lo:[0,0,1] neg_hi:[0,0,1]
	v_pk_fma_f16 v12, v12, 2.0, v14 op_sel_hi:[1,0,1] neg_lo:[0,0,1] neg_hi:[0,0,1]
	;; [unrolled: 1-line block ×3, first 2 shown]
	v_pk_add_f16 v43, v14, v43
	v_lshrrev_b32_e32 v44, 16, v14
	v_pk_add_f16 v19, v45, v19 neg_lo:[0,1] neg_hi:[0,1]
	ds_write2_b32 v34, v35, v6 offset0:2 offset1:3
	v_pack_b32_f16 v6, v11, v41
	v_pk_add_f16 v17, v12, v17 neg_lo:[0,1] neg_hi:[0,1]
	v_fma_f16 v14, v14, 2.0, -v43
	v_fma_f16 v44, v44, 2.0, -v19
	v_pack_b32_f16 v13, v28, v33
	ds_write2_b32 v39, v7, v6 offset1:1
	v_pack_b32_f16 v6, v40, v18
	v_lshl_add_u32 v42, v9, 4, 0
	v_pk_fma_f16 v12, v12, 2.0, v17 op_sel_hi:[1,0,1] neg_lo:[0,0,1] neg_hi:[0,0,1]
	ds_write2_b32 v27, v30, v13 offset1:1
	v_pack_b32_f16 v13, v31, v32
	ds_write2_b32 v39, v16, v6 offset0:2 offset1:3
	v_pack_b32_f16 v6, v14, v44
	ds_write2_b32 v27, v29, v13 offset0:2 offset1:3
	ds_write2_b32 v42, v12, v6 offset1:1
	v_pack_b32_f16 v6, v43, v19
	v_and_b32_e32 v13, 3, v0
	ds_write2_b32 v42, v17, v6 offset0:2 offset1:3
	v_mul_u32_u24_e32 v6, 3, v13
	v_lshlrev_b32_e32 v6, 2, v6
	s_waitcnt lgkmcnt(0)
	s_barrier
	global_load_dwordx3 v[10:12], v6, s[4:5]
	v_lshlrev_b32_e32 v33, 2, v20
	v_lshlrev_b32_e32 v34, 2, v21
	ds_read2st64_b32 v[6:7], v8 offset1:2
	ds_read2st64_b32 v[14:15], v8 offset0:8 offset1:10
	ds_read2st64_b32 v[16:17], v8 offset0:20 offset1:22
	;; [unrolled: 1-line block ×4, first 2 shown]
	ds_read_u16 v35, v8 offset:3074
	ds_read2st64_b32 v[22:23], v8 offset0:12 offset1:14
	s_waitcnt lgkmcnt(5)
	v_lshrrev_b32_e32 v47, 16, v15
	s_waitcnt lgkmcnt(4)
	v_lshrrev_b32_e32 v36, 16, v17
	;; [unrolled: 2-line block ×3, first 2 shown]
	ds_read2st64_b32 v[24:25], v8 offset0:24 offset1:26
	ds_read2st64_b32 v[26:27], v8 offset0:4 offset1:6
	;; [unrolled: 1-line block ×3, first 2 shown]
	s_waitcnt lgkmcnt(3)
	v_lshrrev_b32_e32 v38, 16, v23
	v_lshrrev_b32_e32 v40, 16, v19
	s_waitcnt lgkmcnt(2)
	v_lshrrev_b32_e32 v39, 16, v24
	ds_read2st64_b32 v[30:31], v8 offset0:36 offset1:38
	s_waitcnt lgkmcnt(1)
	v_lshrrev_b32_e32 v41, 16, v28
	v_lshrrev_b32_e32 v42, 16, v25
	;; [unrolled: 1-line block ×4, first 2 shown]
	s_waitcnt lgkmcnt(0)
	v_lshrrev_b32_e32 v43, 16, v30
	v_lshrrev_b32_e32 v46, 16, v31
	v_and_or_b32 v52, v1, s2, v13
	v_lshl_add_u32 v52, v52, 2, 0
	v_lshlrev_b32_e32 v32, 2, v5
	s_barrier
	s_movk_i32 s2, 0x3f0
	v_lshrrev_b32_e32 v51, 16, v14
	v_lshlrev_b32_e32 v9, 2, v9
	s_waitcnt vmcnt(0)
	v_mul_f16_sdwa v48, v10, v47 dst_sel:DWORD dst_unused:UNUSED_PAD src0_sel:WORD_1 src1_sel:DWORD
	v_fma_f16 v48, v10, v15, v48
	v_mul_f16_sdwa v15, v10, v15 dst_sel:DWORD dst_unused:UNUSED_PAD src0_sel:WORD_1 src1_sel:DWORD
	v_fma_f16 v15, v10, v47, -v15
	v_lshrrev_b32_e32 v47, 16, v16
	v_mul_f16_sdwa v49, v11, v47 dst_sel:DWORD dst_unused:UNUSED_PAD src0_sel:WORD_1 src1_sel:DWORD
	v_fma_f16 v49, v11, v16, v49
	v_mul_f16_sdwa v16, v11, v16 dst_sel:DWORD dst_unused:UNUSED_PAD src0_sel:WORD_1 src1_sel:DWORD
	v_fma_f16 v16, v11, v47, -v16
	v_lshrrev_b32_e32 v47, 16, v21
	v_mul_f16_sdwa v50, v12, v47 dst_sel:DWORD dst_unused:UNUSED_PAD src0_sel:WORD_1 src1_sel:DWORD
	v_fma_f16 v50, v12, v21, v50
	v_mul_f16_sdwa v21, v12, v21 dst_sel:DWORD dst_unused:UNUSED_PAD src0_sel:WORD_1 src1_sel:DWORD
	v_fma_f16 v21, v12, v47, -v21
	v_mul_f16_sdwa v47, v35, v10 dst_sel:DWORD dst_unused:UNUSED_PAD src0_sel:DWORD src1_sel:WORD_1
	v_fma_f16 v47, v10, v22, v47
	v_mul_f16_sdwa v22, v10, v22 dst_sel:DWORD dst_unused:UNUSED_PAD src0_sel:WORD_1 src1_sel:DWORD
	v_fma_f16 v22, v35, v10, -v22
	v_mul_f16_sdwa v35, v36, v11 dst_sel:DWORD dst_unused:UNUSED_PAD src0_sel:DWORD src1_sel:WORD_1
	v_fma_f16 v35, v17, v11, v35
	v_mul_f16_sdwa v17, v17, v11 dst_sel:DWORD dst_unused:UNUSED_PAD src0_sel:DWORD src1_sel:WORD_1
	v_fma_f16 v17, v36, v11, -v17
	v_mul_f16_sdwa v36, v37, v12 dst_sel:DWORD dst_unused:UNUSED_PAD src0_sel:DWORD src1_sel:WORD_1
	v_fma_f16 v36, v18, v12, v36
	v_mul_f16_sdwa v18, v18, v12 dst_sel:DWORD dst_unused:UNUSED_PAD src0_sel:DWORD src1_sel:WORD_1
	;; [unrolled: 4-line block ×11, first 2 shown]
	v_fma_f16 v12, v46, v12, -v31
	v_lshrrev_b32_e32 v31, 16, v6
	v_sub_f16_e32 v44, v6, v49
	v_sub_f16_e32 v16, v31, v16
	;; [unrolled: 1-line block ×4, first 2 shown]
	v_fma_f16 v6, v6, 2.0, -v44
	v_fma_f16 v31, v31, 2.0, -v16
	;; [unrolled: 1-line block ×4, first 2 shown]
	v_sub_f16_e32 v46, v6, v46
	v_sub_f16_e32 v15, v31, v15
	v_add_f16_e32 v21, v44, v21
	v_sub_f16_e32 v45, v16, v45
	v_lshrrev_b32_e32 v48, 16, v7
	v_fma_f16 v6, v6, 2.0, -v46
	v_fma_f16 v31, v31, 2.0, -v15
	;; [unrolled: 1-line block ×4, first 2 shown]
	v_sub_f16_e32 v35, v7, v35
	v_sub_f16_e32 v17, v48, v17
	;; [unrolled: 1-line block ×4, first 2 shown]
	v_fma_f16 v7, v7, 2.0, -v35
	v_fma_f16 v48, v48, 2.0, -v17
	;; [unrolled: 1-line block ×4, first 2 shown]
	v_pack_b32_f16 v6, v6, v31
	v_pack_b32_f16 v16, v44, v16
	v_sub_f16_e32 v47, v7, v47
	v_sub_f16_e32 v22, v48, v22
	v_add_f16_e32 v18, v35, v18
	v_sub_f16_e32 v36, v17, v36
	v_lshrrev_b32_e32 v49, 16, v26
	ds_write2_b32 v52, v6, v16 offset1:4
	v_pack_b32_f16 v6, v46, v15
	v_pack_b32_f16 v15, v21, v45
	v_fma_f16 v7, v7, 2.0, -v47
	v_fma_f16 v48, v48, 2.0, -v22
	;; [unrolled: 1-line block ×4, first 2 shown]
	v_sub_f16_e32 v38, v26, v38
	v_sub_f16_e32 v24, v49, v24
	;; [unrolled: 1-line block ×4, first 2 shown]
	ds_write2_b32 v52, v6, v15 offset0:8 offset1:12
	v_and_or_b32 v6, v32, s2, v13
	v_fma_f16 v26, v26, 2.0, -v38
	v_fma_f16 v49, v49, 2.0, -v24
	;; [unrolled: 1-line block ×4, first 2 shown]
	v_lshl_add_u32 v6, v6, 2, 0
	v_pack_b32_f16 v7, v7, v48
	v_pack_b32_f16 v15, v35, v17
	v_sub_f16_e32 v37, v26, v37
	v_sub_f16_e32 v23, v49, v23
	v_add_f16_e32 v19, v38, v19
	v_sub_f16_e32 v39, v24, v39
	v_lshrrev_b32_e32 v50, 16, v27
	ds_write2_b32 v6, v7, v15 offset1:4
	v_pack_b32_f16 v7, v47, v22
	v_pack_b32_f16 v15, v18, v36
	s_movk_i32 s2, 0x5f0
	v_fma_f16 v26, v26, 2.0, -v37
	v_fma_f16 v49, v49, 2.0, -v23
	;; [unrolled: 1-line block ×4, first 2 shown]
	v_sub_f16_e32 v41, v27, v41
	v_sub_f16_e32 v25, v50, v25
	;; [unrolled: 1-line block ×4, first 2 shown]
	ds_write2_b32 v6, v7, v15 offset0:8 offset1:12
	v_and_or_b32 v6, v33, s2, v13
	v_fma_f16 v27, v27, 2.0, -v41
	v_fma_f16 v50, v50, 2.0, -v25
	;; [unrolled: 1-line block ×4, first 2 shown]
	v_lshl_add_u32 v6, v6, 2, 0
	v_pack_b32_f16 v7, v26, v49
	v_pack_b32_f16 v15, v38, v24
	v_sub_f16_e32 v40, v27, v40
	v_sub_f16_e32 v28, v50, v28
	v_add_f16_e32 v30, v41, v30
	v_sub_f16_e32 v42, v25, v42
	ds_write2_b32 v6, v7, v15 offset1:4
	v_pack_b32_f16 v7, v37, v23
	v_pack_b32_f16 v15, v19, v39
	s_movk_i32 s2, 0x7f0
	v_fma_f16 v27, v27, 2.0, -v40
	v_fma_f16 v50, v50, 2.0, -v28
	;; [unrolled: 1-line block ×4, first 2 shown]
	v_sub_f16_e32 v29, v14, v29
	v_sub_f16_e32 v11, v51, v11
	;; [unrolled: 1-line block ×4, first 2 shown]
	ds_write2_b32 v6, v7, v15 offset0:8 offset1:12
	v_and_or_b32 v6, v34, s2, v13
	v_fma_f16 v14, v14, 2.0, -v29
	v_fma_f16 v51, v51, 2.0, -v11
	;; [unrolled: 1-line block ×4, first 2 shown]
	v_lshl_add_u32 v6, v6, 2, 0
	v_pack_b32_f16 v7, v27, v50
	v_pack_b32_f16 v15, v41, v25
	v_sub_f16_e32 v43, v14, v43
	v_sub_f16_e32 v10, v51, v10
	v_add_f16_e32 v12, v29, v12
	v_sub_f16_e32 v20, v11, v20
	ds_write2_b32 v6, v7, v15 offset1:4
	v_pack_b32_f16 v7, v40, v28
	v_pack_b32_f16 v15, v30, v42
	s_movk_i32 s2, 0x9f0
	v_fma_f16 v14, v14, 2.0, -v43
	v_fma_f16 v51, v51, 2.0, -v10
	;; [unrolled: 1-line block ×4, first 2 shown]
	ds_write2_b32 v6, v7, v15 offset0:8 offset1:12
	v_and_or_b32 v6, v9, s2, v13
	v_lshl_add_u32 v6, v6, 2, 0
	v_pack_b32_f16 v7, v14, v51
	v_pack_b32_f16 v11, v29, v11
	ds_write2_b32 v6, v7, v11 offset1:4
	v_pack_b32_f16 v7, v43, v10
	v_pack_b32_f16 v10, v12, v20
	v_and_b32_e32 v13, 15, v0
	ds_write2_b32 v6, v7, v10 offset0:8 offset1:12
	v_mul_u32_u24_e32 v6, 3, v13
	v_lshlrev_b32_e32 v6, 2, v6
	s_waitcnt lgkmcnt(0)
	s_barrier
	global_load_dwordx3 v[10:12], v6, s[4:5] offset:48
	ds_read2st64_b32 v[6:7], v8 offset1:2
	ds_read2st64_b32 v[14:15], v8 offset0:32 offset1:34
	ds_read2st64_b32 v[16:17], v8 offset0:8 offset1:10
	;; [unrolled: 1-line block ×5, first 2 shown]
	s_waitcnt lgkmcnt(4)
	v_lshrrev_b32_e32 v35, 16, v14
	s_waitcnt lgkmcnt(3)
	v_lshrrev_b32_e32 v45, 16, v17
	ds_read2st64_b32 v[24:25], v8 offset0:24 offset1:26
	ds_read2st64_b32 v[26:27], v8 offset0:4 offset1:6
	;; [unrolled: 1-line block ×3, first 2 shown]
	v_lshrrev_b32_e32 v38, 16, v15
	s_waitcnt lgkmcnt(3)
	v_lshrrev_b32_e32 v36, 16, v23
	s_waitcnt lgkmcnt(2)
	v_lshrrev_b32_e32 v37, 16, v24
	ds_read2st64_b32 v[30:31], v8 offset0:36 offset1:38
	s_waitcnt lgkmcnt(1)
	v_lshrrev_b32_e32 v39, 16, v28
	v_lshrrev_b32_e32 v40, 16, v25
	v_lshrrev_b32_e32 v42, 16, v29
	v_lshrrev_b32_e32 v43, 16, v20
	s_waitcnt lgkmcnt(0)
	v_lshrrev_b32_e32 v41, 16, v30
	v_lshrrev_b32_e32 v44, 16, v31
	s_movk_i32 s2, 0x1c0
	v_and_or_b32 v1, v1, s2, v13
	v_lshl_add_u32 v1, v1, 2, 0
	s_barrier
	s_movk_i32 s2, 0x3c0
	v_lshrrev_b32_e32 v51, 16, v16
	s_waitcnt vmcnt(0)
	v_mul_f16_sdwa v46, v10, v45 dst_sel:DWORD dst_unused:UNUSED_PAD src0_sel:WORD_1 src1_sel:DWORD
	v_fma_f16 v46, v10, v17, v46
	v_mul_f16_sdwa v17, v10, v17 dst_sel:DWORD dst_unused:UNUSED_PAD src0_sel:WORD_1 src1_sel:DWORD
	v_fma_f16 v17, v10, v45, -v17
	v_lshrrev_b32_e32 v45, 16, v18
	v_mul_f16_sdwa v47, v11, v45 dst_sel:DWORD dst_unused:UNUSED_PAD src0_sel:WORD_1 src1_sel:DWORD
	v_fma_f16 v47, v11, v18, v47
	v_mul_f16_sdwa v18, v11, v18 dst_sel:DWORD dst_unused:UNUSED_PAD src0_sel:WORD_1 src1_sel:DWORD
	v_fma_f16 v18, v11, v45, -v18
	v_lshrrev_b32_e32 v45, 16, v21
	;; [unrolled: 5-line block ×4, first 2 shown]
	v_mul_f16_sdwa v50, v11, v45 dst_sel:DWORD dst_unused:UNUSED_PAD src0_sel:WORD_1 src1_sel:DWORD
	v_fma_f16 v50, v11, v19, v50
	v_mul_f16_sdwa v19, v11, v19 dst_sel:DWORD dst_unused:UNUSED_PAD src0_sel:WORD_1 src1_sel:DWORD
	v_fma_f16 v19, v11, v45, -v19
	v_mul_f16_sdwa v45, v35, v12 dst_sel:DWORD dst_unused:UNUSED_PAD src0_sel:DWORD src1_sel:WORD_1
	v_fma_f16 v45, v14, v12, v45
	v_mul_f16_sdwa v14, v14, v12 dst_sel:DWORD dst_unused:UNUSED_PAD src0_sel:DWORD src1_sel:WORD_1
	v_fma_f16 v14, v35, v12, -v14
	v_mul_f16_sdwa v35, v36, v10 dst_sel:DWORD dst_unused:UNUSED_PAD src0_sel:DWORD src1_sel:WORD_1
	v_fma_f16 v35, v23, v10, v35
	v_mul_f16_sdwa v23, v23, v10 dst_sel:DWORD dst_unused:UNUSED_PAD src0_sel:DWORD src1_sel:WORD_1
	v_fma_f16 v23, v36, v10, -v23
	v_mul_f16_sdwa v36, v37, v11 dst_sel:DWORD dst_unused:UNUSED_PAD src0_sel:DWORD src1_sel:WORD_1
	v_fma_f16 v36, v24, v11, v36
	v_mul_f16_sdwa v24, v24, v11 dst_sel:DWORD dst_unused:UNUSED_PAD src0_sel:DWORD src1_sel:WORD_1
	v_fma_f16 v24, v37, v11, -v24
	v_mul_f16_sdwa v37, v38, v12 dst_sel:DWORD dst_unused:UNUSED_PAD src0_sel:DWORD src1_sel:WORD_1
	v_fma_f16 v37, v15, v12, v37
	v_mul_f16_sdwa v15, v15, v12 dst_sel:DWORD dst_unused:UNUSED_PAD src0_sel:DWORD src1_sel:WORD_1
	v_fma_f16 v15, v38, v12, -v15
	v_mul_f16_sdwa v38, v39, v10 dst_sel:DWORD dst_unused:UNUSED_PAD src0_sel:DWORD src1_sel:WORD_1
	v_fma_f16 v38, v28, v10, v38
	v_mul_f16_sdwa v28, v28, v10 dst_sel:DWORD dst_unused:UNUSED_PAD src0_sel:DWORD src1_sel:WORD_1
	v_fma_f16 v28, v39, v10, -v28
	v_mul_f16_sdwa v39, v40, v11 dst_sel:DWORD dst_unused:UNUSED_PAD src0_sel:DWORD src1_sel:WORD_1
	v_fma_f16 v39, v25, v11, v39
	v_mul_f16_sdwa v25, v25, v11 dst_sel:DWORD dst_unused:UNUSED_PAD src0_sel:DWORD src1_sel:WORD_1
	v_fma_f16 v25, v40, v11, -v25
	v_mul_f16_sdwa v40, v41, v12 dst_sel:DWORD dst_unused:UNUSED_PAD src0_sel:DWORD src1_sel:WORD_1
	v_fma_f16 v40, v30, v12, v40
	v_mul_f16_sdwa v30, v30, v12 dst_sel:DWORD dst_unused:UNUSED_PAD src0_sel:DWORD src1_sel:WORD_1
	v_fma_f16 v30, v41, v12, -v30
	v_mul_f16_sdwa v41, v42, v10 dst_sel:DWORD dst_unused:UNUSED_PAD src0_sel:DWORD src1_sel:WORD_1
	v_fma_f16 v41, v29, v10, v41
	v_mul_f16_sdwa v29, v29, v10 dst_sel:DWORD dst_unused:UNUSED_PAD src0_sel:DWORD src1_sel:WORD_1
	v_fma_f16 v10, v42, v10, -v29
	v_mul_f16_sdwa v29, v43, v11 dst_sel:DWORD dst_unused:UNUSED_PAD src0_sel:DWORD src1_sel:WORD_1
	v_fma_f16 v29, v20, v11, v29
	v_mul_f16_sdwa v20, v20, v11 dst_sel:DWORD dst_unused:UNUSED_PAD src0_sel:DWORD src1_sel:WORD_1
	v_fma_f16 v11, v43, v11, -v20
	v_mul_f16_sdwa v20, v44, v12 dst_sel:DWORD dst_unused:UNUSED_PAD src0_sel:DWORD src1_sel:WORD_1
	v_fma_f16 v20, v31, v12, v20
	v_mul_f16_sdwa v31, v31, v12 dst_sel:DWORD dst_unused:UNUSED_PAD src0_sel:DWORD src1_sel:WORD_1
	v_fma_f16 v12, v44, v12, -v31
	v_lshrrev_b32_e32 v31, 16, v6
	v_sub_f16_e32 v42, v6, v47
	v_sub_f16_e32 v18, v31, v18
	;; [unrolled: 1-line block ×4, first 2 shown]
	v_fma_f16 v6, v6, 2.0, -v42
	v_fma_f16 v31, v31, 2.0, -v18
	v_fma_f16 v44, v46, 2.0, -v43
	v_fma_f16 v17, v17, 2.0, -v21
	v_sub_f16_e32 v44, v6, v44
	v_sub_f16_e32 v17, v31, v17
	v_add_f16_e32 v21, v42, v21
	v_sub_f16_e32 v43, v18, v43
	v_lshrrev_b32_e32 v46, 16, v7
	v_fma_f16 v6, v6, 2.0, -v44
	v_fma_f16 v31, v31, 2.0, -v17
	;; [unrolled: 1-line block ×4, first 2 shown]
	v_sub_f16_e32 v47, v7, v50
	v_sub_f16_e32 v19, v46, v19
	;; [unrolled: 1-line block ×4, first 2 shown]
	v_fma_f16 v7, v7, 2.0, -v47
	v_fma_f16 v46, v46, 2.0, -v19
	;; [unrolled: 1-line block ×4, first 2 shown]
	v_pack_b32_f16 v6, v6, v31
	v_pack_b32_f16 v18, v42, v18
	v_sub_f16_e32 v48, v7, v48
	v_sub_f16_e32 v22, v46, v22
	v_add_f16_e32 v14, v47, v14
	v_sub_f16_e32 v45, v19, v45
	v_lshrrev_b32_e32 v49, 16, v26
	ds_write2_b32 v1, v6, v18 offset1:16
	v_pack_b32_f16 v6, v44, v17
	v_pack_b32_f16 v17, v21, v43
	v_fma_f16 v7, v7, 2.0, -v48
	v_fma_f16 v46, v46, 2.0, -v22
	;; [unrolled: 1-line block ×4, first 2 shown]
	v_sub_f16_e32 v36, v26, v36
	v_sub_f16_e32 v24, v49, v24
	;; [unrolled: 1-line block ×4, first 2 shown]
	ds_write2_b32 v1, v6, v17 offset0:32 offset1:48
	v_and_or_b32 v1, v32, s2, v13
	v_fma_f16 v26, v26, 2.0, -v36
	v_fma_f16 v49, v49, 2.0, -v24
	;; [unrolled: 1-line block ×4, first 2 shown]
	v_lshl_add_u32 v1, v1, 2, 0
	v_pack_b32_f16 v6, v7, v46
	v_pack_b32_f16 v7, v47, v19
	v_sub_f16_e32 v35, v26, v35
	v_sub_f16_e32 v23, v49, v23
	v_add_f16_e32 v15, v36, v15
	v_sub_f16_e32 v37, v24, v37
	v_lshrrev_b32_e32 v50, 16, v27
	ds_write2_b32 v1, v6, v7 offset1:16
	v_pack_b32_f16 v6, v48, v22
	v_pack_b32_f16 v7, v14, v45
	s_movk_i32 s2, 0x5c0
	v_fma_f16 v26, v26, 2.0, -v35
	v_fma_f16 v49, v49, 2.0, -v23
	;; [unrolled: 1-line block ×4, first 2 shown]
	v_sub_f16_e32 v39, v27, v39
	v_sub_f16_e32 v25, v50, v25
	;; [unrolled: 1-line block ×4, first 2 shown]
	ds_write2_b32 v1, v6, v7 offset0:32 offset1:48
	v_and_or_b32 v1, v33, s2, v13
	v_fma_f16 v27, v27, 2.0, -v39
	v_fma_f16 v50, v50, 2.0, -v25
	;; [unrolled: 1-line block ×4, first 2 shown]
	v_lshl_add_u32 v1, v1, 2, 0
	v_pack_b32_f16 v6, v26, v49
	v_pack_b32_f16 v7, v36, v24
	v_sub_f16_e32 v38, v27, v38
	v_sub_f16_e32 v28, v50, v28
	v_add_f16_e32 v30, v39, v30
	v_sub_f16_e32 v40, v25, v40
	ds_write2_b32 v1, v6, v7 offset1:16
	v_pack_b32_f16 v6, v35, v23
	v_pack_b32_f16 v7, v15, v37
	s_movk_i32 s2, 0x7c0
	v_fma_f16 v27, v27, 2.0, -v38
	v_fma_f16 v50, v50, 2.0, -v28
	;; [unrolled: 1-line block ×4, first 2 shown]
	v_sub_f16_e32 v29, v16, v29
	v_sub_f16_e32 v11, v51, v11
	;; [unrolled: 1-line block ×4, first 2 shown]
	ds_write2_b32 v1, v6, v7 offset0:32 offset1:48
	v_and_or_b32 v1, v34, s2, v13
	v_fma_f16 v16, v16, 2.0, -v29
	v_fma_f16 v51, v51, 2.0, -v11
	;; [unrolled: 1-line block ×4, first 2 shown]
	v_lshl_add_u32 v1, v1, 2, 0
	v_pack_b32_f16 v6, v27, v50
	v_pack_b32_f16 v7, v39, v25
	v_sub_f16_e32 v41, v16, v41
	v_sub_f16_e32 v10, v51, v10
	v_add_f16_e32 v12, v29, v12
	v_sub_f16_e32 v20, v11, v20
	ds_write2_b32 v1, v6, v7 offset1:16
	v_pack_b32_f16 v6, v38, v28
	v_pack_b32_f16 v7, v30, v40
	s_movk_i32 s2, 0x9c0
	v_fma_f16 v16, v16, 2.0, -v41
	v_fma_f16 v51, v51, 2.0, -v10
	;; [unrolled: 1-line block ×4, first 2 shown]
	ds_write2_b32 v1, v6, v7 offset0:32 offset1:48
	v_and_or_b32 v1, v9, s2, v13
	v_lshl_add_u32 v1, v1, 2, 0
	v_pack_b32_f16 v6, v16, v51
	v_pack_b32_f16 v7, v29, v11
	v_and_b32_e32 v9, 63, v0
	ds_write2_b32 v1, v6, v7 offset1:16
	v_pack_b32_f16 v6, v41, v10
	v_pack_b32_f16 v7, v12, v20
	v_mul_u32_u24_e32 v0, 9, v9
	ds_write2_b32 v1, v6, v7 offset0:32 offset1:48
	v_lshlrev_b32_e32 v6, 2, v0
	s_waitcnt lgkmcnt(0)
	s_barrier
	global_load_dwordx4 v[10:13], v6, s[4:5] offset:240
	global_load_dwordx4 v[14:17], v6, s[4:5] offset:256
	global_load_dword v34, v6, s[4:5] offset:272
	ds_read2st64_b32 v[0:1], v8 offset1:2
	ds_read2st64_b32 v[6:7], v8 offset0:4 offset1:6
	ds_read2st64_b32 v[18:19], v8 offset0:8 offset1:10
	;; [unrolled: 1-line block ×9, first 2 shown]
	s_waitcnt lgkmcnt(8)
	v_lshrrev_b32_e32 v51, 16, v6
	s_waitcnt lgkmcnt(4)
	v_lshrrev_b32_e32 v36, 16, v24
	v_lshrrev_b32_e32 v42, 16, v7
	;; [unrolled: 1-line block ×5, first 2 shown]
	s_waitcnt lgkmcnt(3)
	v_lshrrev_b32_e32 v37, 16, v26
	v_lshrrev_b32_e32 v46, 16, v25
	s_waitcnt lgkmcnt(2)
	v_lshrrev_b32_e32 v38, 16, v28
	v_lshrrev_b32_e32 v47, 16, v27
	;; [unrolled: 3-line block ×4, first 2 shown]
	v_lshrrev_b32_e32 v50, 16, v33
	s_movk_i32 s2, 0x38b4
	v_lshrrev_b32_e32 v35, 16, v0
	v_lshrrev_b32_e32 v41, 16, v1
	s_barrier
	s_waitcnt vmcnt(2)
	v_mul_f16_sdwa v52, v10, v51 dst_sel:DWORD dst_unused:UNUSED_PAD src0_sel:WORD_1 src1_sel:DWORD
	v_fma_f16 v52, v10, v6, v52
	v_mul_f16_sdwa v6, v10, v6 dst_sel:DWORD dst_unused:UNUSED_PAD src0_sel:WORD_1 src1_sel:DWORD
	v_fma_f16 v6, v10, v51, -v6
	v_lshrrev_b32_e32 v51, 16, v18
	v_mul_f16_sdwa v53, v11, v51 dst_sel:DWORD dst_unused:UNUSED_PAD src0_sel:WORD_1 src1_sel:DWORD
	v_fma_f16 v53, v11, v18, v53
	v_mul_f16_sdwa v18, v11, v18 dst_sel:DWORD dst_unused:UNUSED_PAD src0_sel:WORD_1 src1_sel:DWORD
	v_fma_f16 v18, v11, v51, -v18
	v_lshrrev_b32_e32 v51, 16, v20
	;; [unrolled: 5-line block ×3, first 2 shown]
	v_mul_f16_sdwa v55, v13, v51 dst_sel:DWORD dst_unused:UNUSED_PAD src0_sel:WORD_1 src1_sel:DWORD
	v_fma_f16 v55, v13, v22, v55
	v_mul_f16_sdwa v22, v13, v22 dst_sel:DWORD dst_unused:UNUSED_PAD src0_sel:WORD_1 src1_sel:DWORD
	v_fma_f16 v22, v13, v51, -v22
	s_waitcnt vmcnt(1)
	v_mul_f16_sdwa v51, v36, v14 dst_sel:DWORD dst_unused:UNUSED_PAD src0_sel:DWORD src1_sel:WORD_1
	v_fma_f16 v51, v24, v14, v51
	v_mul_f16_sdwa v24, v24, v14 dst_sel:DWORD dst_unused:UNUSED_PAD src0_sel:DWORD src1_sel:WORD_1
	v_fma_f16 v24, v36, v14, -v24
	v_mul_f16_sdwa v36, v42, v10 dst_sel:DWORD dst_unused:UNUSED_PAD src0_sel:DWORD src1_sel:WORD_1
	v_fma_f16 v36, v7, v10, v36
	v_mul_f16_sdwa v7, v7, v10 dst_sel:DWORD dst_unused:UNUSED_PAD src0_sel:DWORD src1_sel:WORD_1
	v_fma_f16 v7, v42, v10, -v7
	;; [unrolled: 4-line block ×3, first 2 shown]
	v_mul_f16_sdwa v19, v44, v12 dst_sel:DWORD dst_unused:UNUSED_PAD src0_sel:DWORD src1_sel:WORD_1
	v_fma_f16 v19, v21, v12, v19
	v_mul_f16_sdwa v21, v21, v12 dst_sel:DWORD dst_unused:UNUSED_PAD src0_sel:DWORD src1_sel:WORD_1
	v_mul_f16_sdwa v56, v26, v15 dst_sel:DWORD dst_unused:UNUSED_PAD src0_sel:DWORD src1_sel:WORD_1
	v_fma_f16 v12, v44, v12, -v21
	v_mul_f16_sdwa v21, v45, v13 dst_sel:DWORD dst_unused:UNUSED_PAD src0_sel:DWORD src1_sel:WORD_1
	v_fma_f16 v56, v37, v15, -v56
	v_mul_f16_sdwa v37, v37, v15 dst_sel:DWORD dst_unused:UNUSED_PAD src0_sel:DWORD src1_sel:WORD_1
	v_fma_f16 v21, v23, v13, v21
	v_mul_f16_sdwa v23, v23, v13 dst_sel:DWORD dst_unused:UNUSED_PAD src0_sel:DWORD src1_sel:WORD_1
	v_fma_f16 v26, v26, v15, v37
	v_mul_f16_sdwa v37, v28, v16 dst_sel:DWORD dst_unused:UNUSED_PAD src0_sel:DWORD src1_sel:WORD_1
	v_fma_f16 v13, v45, v13, -v23
	v_mul_f16_sdwa v23, v46, v14 dst_sel:DWORD dst_unused:UNUSED_PAD src0_sel:DWORD src1_sel:WORD_1
	v_fma_f16 v37, v38, v16, -v37
	v_mul_f16_sdwa v38, v38, v16 dst_sel:DWORD dst_unused:UNUSED_PAD src0_sel:DWORD src1_sel:WORD_1
	v_fma_f16 v23, v25, v14, v23
	v_mul_f16_sdwa v25, v25, v14 dst_sel:DWORD dst_unused:UNUSED_PAD src0_sel:DWORD src1_sel:WORD_1
	v_fma_f16 v28, v28, v16, v38
	;; [unrolled: 8-line block ×3, first 2 shown]
	s_waitcnt vmcnt(0)
	v_mul_f16_sdwa v39, v32, v34 dst_sel:DWORD dst_unused:UNUSED_PAD src0_sel:DWORD src1_sel:WORD_1
	v_fma_f16 v15, v47, v15, -v27
	v_mul_f16_sdwa v27, v48, v16 dst_sel:DWORD dst_unused:UNUSED_PAD src0_sel:DWORD src1_sel:WORD_1
	v_fma_f16 v39, v40, v34, -v39
	v_mul_f16_sdwa v40, v40, v34 dst_sel:DWORD dst_unused:UNUSED_PAD src0_sel:DWORD src1_sel:WORD_1
	v_fma_f16 v27, v29, v16, v27
	v_mul_f16_sdwa v29, v29, v16 dst_sel:DWORD dst_unused:UNUSED_PAD src0_sel:DWORD src1_sel:WORD_1
	v_fma_f16 v32, v32, v34, v40
	v_fma_f16 v16, v48, v16, -v29
	v_mul_f16_sdwa v29, v49, v17 dst_sel:DWORD dst_unused:UNUSED_PAD src0_sel:DWORD src1_sel:WORD_1
	v_add_f16_e32 v40, v55, v26
	v_fma_f16 v29, v31, v17, v29
	v_mul_f16_sdwa v31, v31, v17 dst_sel:DWORD dst_unused:UNUSED_PAD src0_sel:DWORD src1_sel:WORD_1
	v_fma_f16 v40, v40, -0.5, v0
	v_sub_f16_e32 v42, v18, v38
	v_fma_f16 v17, v49, v17, -v31
	v_mul_f16_sdwa v31, v50, v34 dst_sel:DWORD dst_unused:UNUSED_PAD src0_sel:DWORD src1_sel:WORD_1
	v_fma_f16 v43, v42, s8, v40
	v_sub_f16_e32 v44, v22, v56
	v_sub_f16_e32 v45, v53, v55
	;; [unrolled: 1-line block ×3, first 2 shown]
	v_fma_f16 v40, v42, s3, v40
	v_fma_f16 v31, v33, v34, v31
	v_mul_f16_sdwa v33, v33, v34 dst_sel:DWORD dst_unused:UNUSED_PAD src0_sel:DWORD src1_sel:WORD_1
	v_fma_f16 v43, v44, s7, v43
	v_add_f16_e32 v45, v45, v46
	v_fma_f16 v40, v44, s2, v40
	v_fma_f16 v33, v50, v34, -v33
	v_add_f16_e32 v34, v0, v53
	v_fma_f16 v43, v45, s6, v43
	v_fma_f16 v40, v45, s6, v40
	v_add_f16_e32 v45, v53, v30
	v_add_f16_e32 v34, v34, v55
	v_fma_f16 v0, v45, -0.5, v0
	v_add_f16_e32 v34, v34, v26
	v_fma_f16 v45, v44, s3, v0
	v_sub_f16_e32 v46, v55, v53
	v_sub_f16_e32 v47, v26, v30
	v_fma_f16 v0, v44, s8, v0
	v_add_f16_e32 v44, v22, v56
	v_add_f16_e32 v34, v34, v30
	v_fma_f16 v45, v42, s7, v45
	v_add_f16_e32 v46, v46, v47
	v_fma_f16 v0, v42, s2, v0
	v_fma_f16 v44, v44, -0.5, v35
	v_sub_f16_e32 v30, v53, v30
	v_fma_f16 v45, v46, s6, v45
	v_fma_f16 v0, v46, s6, v0
	;; [unrolled: 1-line block ×3, first 2 shown]
	v_sub_f16_e32 v26, v55, v26
	v_sub_f16_e32 v47, v18, v22
	;; [unrolled: 1-line block ×3, first 2 shown]
	v_fma_f16 v44, v30, s8, v44
	v_fma_f16 v46, v26, s2, v46
	v_add_f16_e32 v47, v47, v48
	v_fma_f16 v44, v26, s7, v44
	v_fma_f16 v46, v47, s6, v46
	;; [unrolled: 1-line block ×3, first 2 shown]
	v_add_f16_e32 v47, v18, v38
	v_add_f16_e32 v42, v35, v18
	v_fma_f16 v35, v47, -0.5, v35
	v_fma_f16 v47, v26, s8, v35
	v_fma_f16 v26, v26, s3, v35
	v_add_f16_e32 v42, v42, v22
	v_fma_f16 v47, v30, s2, v47
	v_sub_f16_e32 v18, v22, v18
	v_sub_f16_e32 v22, v56, v38
	v_fma_f16 v26, v30, s7, v26
	v_add_f16_e32 v30, v51, v28
	v_add_f16_e32 v42, v42, v56
	;; [unrolled: 1-line block ×3, first 2 shown]
	v_fma_f16 v30, v30, -0.5, v52
	v_sub_f16_e32 v35, v20, v39
	v_add_f16_e32 v42, v42, v38
	v_fma_f16 v22, v18, s6, v47
	v_fma_f16 v38, v35, s8, v30
	v_sub_f16_e32 v47, v24, v37
	v_sub_f16_e32 v48, v54, v51
	;; [unrolled: 1-line block ×3, first 2 shown]
	v_fma_f16 v30, v35, s3, v30
	v_fma_f16 v38, v47, s7, v38
	v_add_f16_e32 v48, v48, v49
	v_fma_f16 v30, v47, s2, v30
	v_fma_f16 v18, v18, s6, v26
	v_add_f16_e32 v26, v52, v54
	;; [unrolled: 3-line block ×3, first 2 shown]
	v_add_f16_e32 v26, v26, v51
	v_fma_f16 v48, v48, -0.5, v52
	v_add_f16_e32 v26, v26, v28
	v_fma_f16 v49, v47, s3, v48
	v_sub_f16_e32 v50, v51, v54
	v_sub_f16_e32 v52, v28, v32
	v_fma_f16 v47, v47, s8, v48
	v_add_f16_e32 v48, v24, v37
	v_add_f16_e32 v26, v26, v32
	v_fma_f16 v49, v35, s7, v49
	v_add_f16_e32 v50, v50, v52
	v_fma_f16 v35, v35, s2, v47
	v_fma_f16 v48, v48, -0.5, v6
	v_sub_f16_e32 v32, v54, v32
	v_fma_f16 v49, v50, s6, v49
	v_fma_f16 v35, v50, s6, v35
	;; [unrolled: 1-line block ×3, first 2 shown]
	v_sub_f16_e32 v28, v51, v28
	v_sub_f16_e32 v51, v20, v24
	;; [unrolled: 1-line block ×3, first 2 shown]
	v_fma_f16 v48, v32, s8, v48
	v_fma_f16 v50, v28, s2, v50
	v_add_f16_e32 v51, v51, v52
	v_fma_f16 v48, v28, s7, v48
	v_fma_f16 v50, v51, s6, v50
	;; [unrolled: 1-line block ×3, first 2 shown]
	v_add_f16_e32 v51, v20, v39
	v_add_f16_e32 v47, v6, v20
	v_fma_f16 v6, v51, -0.5, v6
	v_add_f16_e32 v47, v47, v24
	v_fma_f16 v51, v28, s8, v6
	v_sub_f16_e32 v20, v24, v20
	v_sub_f16_e32 v24, v37, v39
	v_fma_f16 v6, v28, s3, v6
	v_add_f16_e32 v20, v20, v24
	v_fma_f16 v6, v32, s7, v6
	v_fma_f16 v51, v32, s2, v51
	;; [unrolled: 1-line block ×4, first 2 shown]
	v_mul_f16_e32 v51, 0xbb9c, v6
	v_mul_f16_e32 v53, 0xb8b4, v48
	;; [unrolled: 1-line block ×4, first 2 shown]
	v_add_f16_e32 v47, v47, v37
	v_mul_f16_e32 v37, 0xbb9c, v24
	v_fma_f16 v53, v30, s11, v53
	v_fma_f16 v6, v35, s3, v6
	;; [unrolled: 1-line block ×3, first 2 shown]
	v_add_f16_e32 v47, v47, v39
	v_mul_f16_e32 v28, 0xb8b4, v50
	v_fma_f16 v37, v49, s6, v37
	v_fma_f16 v51, v35, s10, v51
	v_mul_f16_e32 v50, 0x3a79, v50
	v_add_f16_e32 v35, v18, v6
	v_add_f16_e32 v48, v44, v30
	v_sub_f16_e32 v6, v18, v6
	v_sub_f16_e32 v18, v44, v30
	v_add_f16_e32 v30, v21, v25
	v_add_f16_e32 v20, v34, v26
	v_fma_f16 v28, v38, s9, v28
	v_add_f16_e32 v39, v45, v37
	v_add_f16_e32 v54, v40, v53
	;; [unrolled: 1-line block ×3, first 2 shown]
	v_fma_f16 v38, v38, s2, v50
	v_sub_f16_e32 v26, v34, v26
	v_sub_f16_e32 v34, v45, v37
	;; [unrolled: 1-line block ×4, first 2 shown]
	v_fma_f16 v30, v30, -0.5, v1
	v_sub_f16_e32 v42, v11, v17
	v_add_f16_e32 v32, v43, v28
	v_add_f16_e32 v50, v46, v38
	v_sub_f16_e32 v28, v43, v28
	v_sub_f16_e32 v38, v46, v38
	v_fma_f16 v43, v42, s8, v30
	v_sub_f16_e32 v44, v13, v15
	v_sub_f16_e32 v45, v10, v21
	;; [unrolled: 1-line block ×3, first 2 shown]
	v_fma_f16 v30, v42, s3, v30
	v_mul_f16_e32 v24, 0x34f2, v24
	v_fma_f16 v43, v44, s7, v43
	v_add_f16_e32 v45, v45, v46
	v_fma_f16 v30, v44, s2, v30
	v_fma_f16 v24, v49, s3, v24
	;; [unrolled: 1-line block ×4, first 2 shown]
	v_add_f16_e32 v45, v10, v29
	v_add_f16_e32 v49, v22, v24
	v_sub_f16_e32 v22, v22, v24
	v_add_f16_e32 v24, v1, v10
	v_fma_f16 v1, v45, -0.5, v1
	v_add_f16_e32 v24, v24, v21
	v_fma_f16 v45, v44, s3, v1
	v_fma_f16 v1, v44, s8, v1
	v_add_f16_e32 v44, v13, v15
	v_add_f16_e32 v24, v24, v25
	v_sub_f16_e32 v46, v21, v10
	v_sub_f16_e32 v47, v25, v29
	v_fma_f16 v44, v44, -0.5, v41
	v_sub_f16_e32 v10, v10, v29
	v_add_f16_e32 v24, v24, v29
	v_fma_f16 v45, v42, s7, v45
	v_add_f16_e32 v46, v46, v47
	v_fma_f16 v1, v42, s2, v1
	v_fma_f16 v29, v10, s3, v44
	v_sub_f16_e32 v21, v21, v25
	v_fma_f16 v45, v46, s6, v45
	v_fma_f16 v1, v46, s6, v1
	;; [unrolled: 1-line block ×3, first 2 shown]
	v_sub_f16_e32 v29, v11, v13
	v_sub_f16_e32 v46, v17, v15
	v_fma_f16 v44, v10, s8, v44
	v_add_f16_e32 v29, v29, v46
	v_fma_f16 v44, v21, s7, v44
	v_add_f16_e32 v42, v41, v11
	v_fma_f16 v25, v29, s6, v25
	v_fma_f16 v29, v29, s6, v44
	v_add_f16_e32 v44, v11, v17
	v_add_f16_e32 v42, v42, v13
	v_fma_f16 v41, v44, -0.5, v41
	v_add_f16_e32 v42, v42, v15
	v_fma_f16 v44, v21, s8, v41
	v_sub_f16_e32 v11, v13, v11
	v_sub_f16_e32 v13, v15, v17
	v_fma_f16 v15, v21, s3, v41
	v_fma_f16 v44, v10, s2, v44
	;; [unrolled: 1-line block ×3, first 2 shown]
	v_add_f16_e32 v15, v23, v27
	v_add_f16_e32 v42, v42, v17
	;; [unrolled: 1-line block ×3, first 2 shown]
	v_fma_f16 v15, v15, -0.5, v36
	v_sub_f16_e32 v17, v12, v33
	v_fma_f16 v13, v11, s6, v44
	v_fma_f16 v21, v17, s8, v15
	v_sub_f16_e32 v41, v14, v16
	v_sub_f16_e32 v44, v19, v23
	;; [unrolled: 1-line block ×3, first 2 shown]
	v_fma_f16 v15, v17, s3, v15
	v_fma_f16 v21, v41, s7, v21
	v_add_f16_e32 v44, v44, v46
	v_fma_f16 v15, v41, s2, v15
	v_fma_f16 v21, v44, s6, v21
	;; [unrolled: 1-line block ×3, first 2 shown]
	v_add_f16_e32 v44, v19, v31
	v_fma_f16 v10, v11, s6, v10
	v_add_f16_e32 v11, v36, v19
	v_fma_f16 v36, v44, -0.5, v36
	v_add_f16_e32 v11, v11, v23
	v_fma_f16 v44, v41, s3, v36
	v_fma_f16 v36, v41, s8, v36
	v_add_f16_e32 v41, v14, v16
	v_add_f16_e32 v11, v11, v27
	v_sub_f16_e32 v46, v23, v19
	v_sub_f16_e32 v47, v27, v31
	v_fma_f16 v41, v41, -0.5, v7
	v_sub_f16_e32 v19, v19, v31
	v_add_f16_e32 v11, v11, v31
	v_fma_f16 v44, v17, s7, v44
	v_add_f16_e32 v46, v46, v47
	v_fma_f16 v17, v17, s2, v36
	v_fma_f16 v31, v19, s3, v41
	v_sub_f16_e32 v23, v23, v27
	v_fma_f16 v44, v46, s6, v44
	v_fma_f16 v17, v46, s6, v17
	;; [unrolled: 1-line block ×3, first 2 shown]
	v_sub_f16_e32 v31, v12, v14
	v_sub_f16_e32 v46, v33, v16
	v_fma_f16 v41, v19, s8, v41
	v_add_f16_e32 v31, v31, v46
	v_fma_f16 v41, v23, s7, v41
	v_fma_f16 v27, v31, s6, v27
	;; [unrolled: 1-line block ×3, first 2 shown]
	v_add_f16_e32 v41, v12, v33
	v_add_f16_e32 v36, v7, v12
	v_fma_f16 v7, v41, -0.5, v7
	v_add_f16_e32 v36, v36, v14
	v_fma_f16 v41, v23, s8, v7
	v_sub_f16_e32 v12, v14, v12
	v_sub_f16_e32 v14, v16, v33
	v_fma_f16 v41, v19, s2, v41
	v_add_f16_e32 v12, v12, v14
	v_fma_f16 v14, v12, s6, v41
	v_fma_f16 v7, v23, s3, v7
	v_mul_f16_e32 v23, 0xbb9c, v14
	v_mul_f16_e32 v14, 0x34f2, v14
	v_fma_f16 v14, v44, s3, v14
	v_fma_f16 v7, v19, s7, v7
	;; [unrolled: 1-line block ×3, first 2 shown]
	v_add_f16_e32 v44, v13, v14
	v_sub_f16_e32 v13, v13, v14
	v_lshrrev_b32_e32 v14, 6, v4
	v_fma_f16 v7, v12, s6, v7
	v_mul_u32_u24_e32 v14, 0x280, v14
	v_add_f16_e32 v52, v0, v51
	v_sub_f16_e32 v0, v0, v51
	v_mul_f16_e32 v41, 0xbb9c, v7
	v_mul_f16_e32 v47, 0xb8b4, v31
	;; [unrolled: 1-line block ×4, first 2 shown]
	v_or_b32_e32 v14, v14, v9
	v_fma_f16 v47, v15, s11, v47
	v_fma_f16 v7, v17, s3, v7
	;; [unrolled: 1-line block ×3, first 2 shown]
	v_lshl_add_u32 v14, v14, 2, 0
	v_pack_b32_f16 v0, v0, v6
	v_pack_b32_f16 v6, v37, v18
	v_add_f16_e32 v36, v36, v16
	v_mul_f16_e32 v16, 0xb8b4, v27
	v_fma_f16 v41, v17, s10, v41
	v_mul_f16_e32 v27, 0x3a79, v27
	v_add_f16_e32 v17, v10, v7
	v_add_f16_e32 v31, v29, v15
	v_sub_f16_e32 v7, v10, v7
	v_sub_f16_e32 v10, v29, v15
	v_pack_b32_f16 v15, v20, v55
	v_pack_b32_f16 v20, v32, v50
	ds_write2st64_b32 v14, v0, v6 offset0:8 offset1:9
	v_lshrrev_b32_e32 v0, 6, v5
	v_add_f16_e32 v36, v36, v33
	v_fma_f16 v16, v21, s9, v16
	v_fma_f16 v21, v21, s2, v27
	ds_write2st64_b32 v14, v15, v20 offset1:1
	v_pack_b32_f16 v15, v39, v49
	v_pack_b32_f16 v20, v52, v35
	v_mul_u32_u24_e32 v0, 0x280, v0
	v_add_f16_e32 v12, v24, v11
	v_add_f16_e32 v19, v43, v16
	;; [unrolled: 1-line block ×4, first 2 shown]
	ds_write2st64_b32 v14, v15, v20 offset0:2 offset1:3
	v_pack_b32_f16 v15, v54, v48
	v_pack_b32_f16 v20, v26, v40
	v_or_b32_e32 v0, v0, v9
	v_add_f16_e32 v33, v45, v23
	v_add_f16_e32 v46, v1, v41
	ds_write2st64_b32 v14, v15, v20 offset0:4 offset1:5
	v_pack_b32_f16 v15, v28, v38
	v_pack_b32_f16 v20, v34, v22
	v_lshl_add_u32 v0, v0, 2, 0
	v_pack_b32_f16 v5, v12, v53
	v_pack_b32_f16 v6, v19, v27
	v_add_f16_e32 v51, v30, v47
	v_sub_f16_e32 v11, v24, v11
	v_sub_f16_e32 v24, v30, v47
	;; [unrolled: 1-line block ×3, first 2 shown]
	ds_write2st64_b32 v14, v15, v20 offset0:6 offset1:7
	ds_write2st64_b32 v0, v5, v6 offset1:1
	v_pack_b32_f16 v5, v33, v44
	v_pack_b32_f16 v6, v46, v17
	v_sub_f16_e32 v16, v43, v16
	v_sub_f16_e32 v23, v45, v23
	;; [unrolled: 1-line block ×3, first 2 shown]
	ds_write2st64_b32 v0, v5, v6 offset0:2 offset1:3
	v_pack_b32_f16 v5, v51, v31
	v_pack_b32_f16 v6, v11, v30
	v_sub_f16_e32 v1, v1, v41
	ds_write2st64_b32 v0, v5, v6 offset0:4 offset1:5
	v_pack_b32_f16 v5, v16, v21
	v_pack_b32_f16 v6, v23, v13
	ds_write2st64_b32 v0, v5, v6 offset0:6 offset1:7
	v_pack_b32_f16 v1, v1, v7
	v_pack_b32_f16 v5, v24, v10
	ds_write2st64_b32 v0, v1, v5 offset0:8 offset1:9
	v_mul_u32_u24_e32 v0, 3, v4
	v_lshlrev_b32_e32 v0, 2, v0
	s_waitcnt lgkmcnt(0)
	s_barrier
	global_load_dwordx3 v[10:12], v0, s[4:5] offset:2544
	global_load_dwordx3 v[14:16], v0, s[4:5] offset:4080
	v_mov_b32_e32 v1, 0
	s_movk_i32 s2, 0x1000
	v_lshl_add_u64 v[6:7], s[4:5], 0, v[0:1]
	v_add_co_u32_e32 v6, vcc, s2, v6
	v_or_b32_e32 v0, 0x1800, v0
	s_nop 0
	v_addc_co_u32_e32 v7, vcc, 0, v7, vcc
	global_load_dwordx3 v[18:20], v[6:7], off offset:1520
	global_load_dwordx3 v[22:24], v[6:7], off offset:3056
	global_load_dwordx3 v[26:28], v0, s[4:5] offset:2544
	ds_read2st64_b32 v[6:7], v8 offset1:2
	ds_read2st64_b32 v[30:31], v8 offset0:8 offset1:10
	ds_read2st64_b32 v[32:33], v8 offset0:20 offset1:22
	;; [unrolled: 1-line block ×7, first 2 shown]
	s_waitcnt lgkmcnt(6)
	v_lshrrev_b32_e32 v54, 16, v31
	s_waitcnt lgkmcnt(5)
	v_lshrrev_b32_e32 v9, 16, v33
	ds_read2st64_b32 v[44:45], v8 offset0:16 offset1:18
	s_waitcnt lgkmcnt(2)
	v_lshrrev_b32_e32 v21, 16, v41
	ds_read2st64_b32 v[46:47], v8 offset0:36 offset1:38
	s_waitcnt lgkmcnt(2)
	v_lshrrev_b32_e32 v25, 16, v42
	v_lshrrev_b32_e32 v29, 16, v37
	;; [unrolled: 1-line block ×3, first 2 shown]
	s_waitcnt lgkmcnt(1)
	v_lshrrev_b32_e32 v49, 16, v44
	v_lshrrev_b32_e32 v50, 16, v43
	s_waitcnt lgkmcnt(0)
	v_lshrrev_b32_e32 v51, 16, v46
	v_lshrrev_b32_e32 v53, 16, v45
	v_lshrrev_b32_e32 v0, 16, v6
	v_lshrrev_b32_e32 v5, 16, v7
	v_lshrrev_b32_e32 v17, 16, v38
	v_lshrrev_b32_e32 v48, 16, v39
	v_lshrrev_b32_e32 v52, 16, v30
	s_barrier
	s_waitcnt vmcnt(4)
	v_mul_f16_sdwa v55, v10, v54 dst_sel:DWORD dst_unused:UNUSED_PAD src0_sel:WORD_1 src1_sel:DWORD
	v_fma_f16 v55, v10, v31, v55
	v_mul_f16_sdwa v31, v10, v31 dst_sel:DWORD dst_unused:UNUSED_PAD src0_sel:WORD_1 src1_sel:DWORD
	v_fma_f16 v10, v10, v54, -v31
	v_lshrrev_b32_e32 v31, 16, v32
	v_mul_f16_sdwa v54, v11, v31 dst_sel:DWORD dst_unused:UNUSED_PAD src0_sel:WORD_1 src1_sel:DWORD
	v_fma_f16 v54, v11, v32, v54
	v_mul_f16_sdwa v32, v11, v32 dst_sel:DWORD dst_unused:UNUSED_PAD src0_sel:WORD_1 src1_sel:DWORD
	v_fma_f16 v11, v11, v31, -v32
	v_lshrrev_b32_e32 v31, 16, v35
	v_mul_f16_sdwa v32, v12, v35 dst_sel:DWORD dst_unused:UNUSED_PAD src0_sel:WORD_1 src1_sel:DWORD
	v_fma_f16 v32, v12, v31, -v32
	v_mul_f16_sdwa v31, v12, v31 dst_sel:DWORD dst_unused:UNUSED_PAD src0_sel:WORD_1 src1_sel:DWORD
	v_fma_f16 v12, v12, v35, v31
	v_lshrrev_b32_e32 v35, 16, v40
	s_waitcnt vmcnt(3)
	v_mul_f16_sdwa v56, v9, v15 dst_sel:DWORD dst_unused:UNUSED_PAD src0_sel:DWORD src1_sel:WORD_1
	v_mul_f16_sdwa v57, v14, v40 dst_sel:DWORD dst_unused:UNUSED_PAD src0_sel:WORD_1 src1_sel:DWORD
	v_fma_f16 v56, v33, v15, v56
	v_mul_f16_sdwa v33, v33, v15 dst_sel:DWORD dst_unused:UNUSED_PAD src0_sel:DWORD src1_sel:WORD_1
	v_fma_f16 v57, v14, v35, -v57
	v_mul_f16_sdwa v35, v14, v35 dst_sel:DWORD dst_unused:UNUSED_PAD src0_sel:WORD_1 src1_sel:DWORD
	v_fma_f16 v14, v14, v40, v35
	v_fma_f16 v9, v9, v15, -v33
	s_waitcnt vmcnt(2)
	v_mul_f16_sdwa v33, v21, v18 dst_sel:DWORD dst_unused:UNUSED_PAD src0_sel:DWORD src1_sel:WORD_1
	v_mul_f16_sdwa v35, v41, v18 dst_sel:DWORD dst_unused:UNUSED_PAD src0_sel:DWORD src1_sel:WORD_1
	v_fma_f16 v33, v41, v18, v33
	v_fma_f16 v18, v21, v18, -v35
	v_mul_f16_sdwa v21, v25, v19 dst_sel:DWORD dst_unused:UNUSED_PAD src0_sel:DWORD src1_sel:WORD_1
	v_mul_f16_sdwa v35, v42, v19 dst_sel:DWORD dst_unused:UNUSED_PAD src0_sel:DWORD src1_sel:WORD_1
	;; [unrolled: 1-line block ×3, first 2 shown]
	v_fma_f16 v21, v42, v19, v21
	v_fma_f16 v19, v25, v19, -v35
	v_mul_f16_sdwa v25, v29, v20 dst_sel:DWORD dst_unused:UNUSED_PAD src0_sel:DWORD src1_sel:WORD_1
	v_mul_f16_sdwa v35, v37, v20 dst_sel:DWORD dst_unused:UNUSED_PAD src0_sel:DWORD src1_sel:WORD_1
	v_fma_f16 v15, v13, v16, -v15
	v_mul_f16_sdwa v13, v13, v16 dst_sel:DWORD dst_unused:UNUSED_PAD src0_sel:DWORD src1_sel:WORD_1
	v_fma_f16 v25, v37, v20, v25
	v_fma_f16 v20, v29, v20, -v35
	s_waitcnt vmcnt(1)
	v_mul_f16_sdwa v29, v49, v22 dst_sel:DWORD dst_unused:UNUSED_PAD src0_sel:DWORD src1_sel:WORD_1
	v_mul_f16_sdwa v35, v44, v22 dst_sel:DWORD dst_unused:UNUSED_PAD src0_sel:DWORD src1_sel:WORD_1
	v_fma_f16 v13, v36, v16, v13
	v_fma_f16 v29, v44, v22, v29
	v_fma_f16 v22, v49, v22, -v35
	v_mul_f16_sdwa v35, v50, v23 dst_sel:DWORD dst_unused:UNUSED_PAD src0_sel:DWORD src1_sel:WORD_1
	v_mul_f16_sdwa v36, v43, v23 dst_sel:DWORD dst_unused:UNUSED_PAD src0_sel:DWORD src1_sel:WORD_1
	v_fma_f16 v35, v43, v23, v35
	v_fma_f16 v23, v50, v23, -v36
	v_mul_f16_sdwa v36, v51, v24 dst_sel:DWORD dst_unused:UNUSED_PAD src0_sel:DWORD src1_sel:WORD_1
	v_mul_f16_sdwa v37, v46, v24 dst_sel:DWORD dst_unused:UNUSED_PAD src0_sel:DWORD src1_sel:WORD_1
	v_lshrrev_b32_e32 v31, 16, v34
	v_fma_f16 v36, v46, v24, v36
	v_fma_f16 v24, v51, v24, -v37
	s_waitcnt vmcnt(0)
	v_mul_f16_sdwa v37, v53, v26 dst_sel:DWORD dst_unused:UNUSED_PAD src0_sel:DWORD src1_sel:WORD_1
	v_mul_f16_sdwa v40, v45, v26 dst_sel:DWORD dst_unused:UNUSED_PAD src0_sel:DWORD src1_sel:WORD_1
	v_fma_f16 v37, v45, v26, v37
	v_fma_f16 v26, v53, v26, -v40
	v_mul_f16_sdwa v40, v31, v27 dst_sel:DWORD dst_unused:UNUSED_PAD src0_sel:DWORD src1_sel:WORD_1
	v_lshrrev_b32_e32 v16, 16, v47
	v_fma_f16 v40, v34, v27, v40
	v_mul_f16_sdwa v34, v34, v27 dst_sel:DWORD dst_unused:UNUSED_PAD src0_sel:DWORD src1_sel:WORD_1
	v_fma_f16 v27, v31, v27, -v34
	v_mul_f16_sdwa v31, v16, v28 dst_sel:DWORD dst_unused:UNUSED_PAD src0_sel:DWORD src1_sel:WORD_1
	v_mul_f16_sdwa v34, v47, v28 dst_sel:DWORD dst_unused:UNUSED_PAD src0_sel:DWORD src1_sel:WORD_1
	v_fma_f16 v31, v47, v28, v31
	v_fma_f16 v16, v16, v28, -v34
	v_sub_f16_e32 v28, v6, v54
	v_sub_f16_e32 v11, v0, v11
	;; [unrolled: 1-line block ×8, first 2 shown]
	v_fma_f16 v6, v6, 2.0, -v28
	v_fma_f16 v0, v0, 2.0, -v11
	;; [unrolled: 1-line block ×8, first 2 shown]
	v_sub_f16_e32 v34, v6, v34
	v_sub_f16_e32 v10, v0, v10
	;; [unrolled: 1-line block ×8, first 2 shown]
	v_fma_f16 v6, v6, 2.0, -v34
	v_fma_f16 v0, v0, 2.0, -v10
	;; [unrolled: 1-line block ×4, first 2 shown]
	v_add_f16_e32 v15, v41, v15
	v_sub_f16_e32 v13, v9, v13
	v_fma_f16 v33, v33, 2.0, -v25
	v_fma_f16 v18, v18, 2.0, -v20
	v_add_f16_e32 v20, v21, v20
	v_sub_f16_e32 v25, v19, v25
	v_sub_f16_e32 v35, v39, v35
	;; [unrolled: 1-line block ×5, first 2 shown]
	v_fma_f16 v41, v41, 2.0, -v15
	v_fma_f16 v9, v9, 2.0, -v13
	;; [unrolled: 1-line block ×10, first 2 shown]
	v_pack_b32_f16 v0, v6, v0
	v_pack_b32_f16 v5, v7, v5
	v_sub_f16_e32 v33, v38, v33
	v_sub_f16_e32 v18, v17, v18
	;; [unrolled: 1-line block ×8, first 2 shown]
	v_pack_b32_f16 v10, v34, v10
	ds_write2st64_b32 v8, v0, v5 offset1:2
	v_pack_b32_f16 v0, v41, v9
	v_pack_b32_f16 v5, v14, v42
	;; [unrolled: 1-line block ×3, first 2 shown]
	v_fma_f16 v38, v38, 2.0, -v33
	v_fma_f16 v17, v17, 2.0, -v18
	;; [unrolled: 1-line block ×8, first 2 shown]
	ds_write2st64_b32 v8, v10, v5 offset0:20 offset1:22
	v_pack_b32_f16 v5, v15, v13
	ds_write2st64_b32 v8, v0, v9 offset0:12 offset1:14
	v_pack_b32_f16 v9, v20, v25
	v_add_f16_e32 v32, v28, v32
	v_sub_f16_e32 v12, v11, v12
	v_sub_f16_e32 v37, v30, v37
	;; [unrolled: 1-line block ×3, first 2 shown]
	v_pack_b32_f16 v7, v38, v17
	ds_write2st64_b32 v8, v5, v9 offset0:32 offset1:34
	v_pack_b32_f16 v5, v39, v43
	v_fma_f16 v28, v28, 2.0, -v32
	v_fma_f16 v11, v11, 2.0, -v12
	v_add_f16_e32 v24, v35, v24
	v_sub_f16_e32 v36, v23, v36
	v_fma_f16 v30, v30, 2.0, -v37
	v_fma_f16 v44, v44, 2.0, -v26
	v_add_f16_e32 v16, v40, v16
	v_sub_f16_e32 v31, v27, v31
	v_pack_b32_f16 v0, v33, v18
	ds_write2st64_b32 v8, v7, v5 offset0:4 offset1:6
	v_pack_b32_f16 v7, v29, v22
	v_fma_f16 v35, v35, 2.0, -v24
	v_fma_f16 v23, v23, 2.0, -v36
	;; [unrolled: 1-line block ×4, first 2 shown]
	v_pack_b32_f16 v6, v28, v11
	ds_write2st64_b32 v8, v0, v7 offset0:24 offset1:26
	v_pack_b32_f16 v7, v30, v44
	v_pack_b32_f16 v5, v35, v23
	ds_write2st64_b32 v8, v7, v6 offset0:8 offset1:10
	v_pack_b32_f16 v6, v40, v27
	;; [unrolled: 3-line block ×4, first 2 shown]
	ds_write2st64_b32 v8, v0, v5 offset0:36 offset1:38
	s_waitcnt lgkmcnt(0)
	s_barrier
	s_and_saveexec_b64 s[2:3], s[0:1]
	s_cbranch_execz .LBB0_19
; %bb.18:
	v_lshl_add_u32 v12, v4, 2, 0
	ds_read2st64_b32 v[6:7], v12 offset1:2
	ds_read2st64_b32 v[10:11], v12 offset0:4 offset1:6
	v_mov_b32_e32 v5, v1
	v_add_u32_e32 v0, 0x80, v4
	v_lshl_add_u64 v[8:9], v[4:5], 2, v[2:3]
	s_waitcnt lgkmcnt(1)
	global_store_dword v[8:9], v6, off
	v_lshl_add_u64 v[8:9], v[0:1], 2, v[2:3]
	v_add_u32_e32 v0, 0x100, v4
	global_store_dword v[8:9], v7, off
	v_lshl_add_u64 v[6:7], v[0:1], 2, v[2:3]
	s_waitcnt lgkmcnt(0)
	global_store_dword v[6:7], v10, off
	ds_read2st64_b32 v[6:7], v12 offset0:8 offset1:10
	v_add_u32_e32 v0, 0x180, v4
	v_lshl_add_u64 v[8:9], v[0:1], 2, v[2:3]
	v_add_u32_e32 v0, 0x200, v4
	global_store_dword v[8:9], v11, off
	v_lshl_add_u64 v[8:9], v[0:1], 2, v[2:3]
	s_waitcnt lgkmcnt(0)
	global_store_dword v[8:9], v6, off
	ds_read2st64_b32 v[8:9], v12 offset0:12 offset1:14
	v_add_u32_e32 v0, 0x280, v4
	;; [unrolled: 8-line block ×8, first 2 shown]
	v_lshl_add_u64 v[10:11], v[0:1], 2, v[2:3]
	v_add_u32_e32 v0, 0x900, v4
	global_store_dword v[10:11], v7, off
	v_lshl_add_u64 v[6:7], v[0:1], 2, v[2:3]
	v_add_u32_e32 v0, 0x980, v4
	v_lshl_add_u64 v[0:1], v[0:1], 2, v[2:3]
	s_waitcnt lgkmcnt(0)
	global_store_dword v[6:7], v8, off
	global_store_dword v[0:1], v9, off
.LBB0_19:
	s_endpgm
	.section	.rodata,"a",@progbits
	.p2align	6, 0x0
	.amdhsa_kernel fft_rtc_back_len2560_factors_4_4_4_10_4_wgs_128_tpt_128_halfLds_half_ip_CI_unitstride_sbrr_C2R_dirReg
		.amdhsa_group_segment_fixed_size 0
		.amdhsa_private_segment_fixed_size 0
		.amdhsa_kernarg_size 88
		.amdhsa_user_sgpr_count 2
		.amdhsa_user_sgpr_dispatch_ptr 0
		.amdhsa_user_sgpr_queue_ptr 0
		.amdhsa_user_sgpr_kernarg_segment_ptr 1
		.amdhsa_user_sgpr_dispatch_id 0
		.amdhsa_user_sgpr_kernarg_preload_length 0
		.amdhsa_user_sgpr_kernarg_preload_offset 0
		.amdhsa_user_sgpr_private_segment_size 0
		.amdhsa_uses_dynamic_stack 0
		.amdhsa_enable_private_segment 0
		.amdhsa_system_sgpr_workgroup_id_x 1
		.amdhsa_system_sgpr_workgroup_id_y 0
		.amdhsa_system_sgpr_workgroup_id_z 0
		.amdhsa_system_sgpr_workgroup_info 0
		.amdhsa_system_vgpr_workitem_id 0
		.amdhsa_next_free_vgpr 58
		.amdhsa_next_free_sgpr 22
		.amdhsa_accum_offset 60
		.amdhsa_reserve_vcc 1
		.amdhsa_float_round_mode_32 0
		.amdhsa_float_round_mode_16_64 0
		.amdhsa_float_denorm_mode_32 3
		.amdhsa_float_denorm_mode_16_64 3
		.amdhsa_dx10_clamp 1
		.amdhsa_ieee_mode 1
		.amdhsa_fp16_overflow 0
		.amdhsa_tg_split 0
		.amdhsa_exception_fp_ieee_invalid_op 0
		.amdhsa_exception_fp_denorm_src 0
		.amdhsa_exception_fp_ieee_div_zero 0
		.amdhsa_exception_fp_ieee_overflow 0
		.amdhsa_exception_fp_ieee_underflow 0
		.amdhsa_exception_fp_ieee_inexact 0
		.amdhsa_exception_int_div_zero 0
	.end_amdhsa_kernel
	.text
.Lfunc_end0:
	.size	fft_rtc_back_len2560_factors_4_4_4_10_4_wgs_128_tpt_128_halfLds_half_ip_CI_unitstride_sbrr_C2R_dirReg, .Lfunc_end0-fft_rtc_back_len2560_factors_4_4_4_10_4_wgs_128_tpt_128_halfLds_half_ip_CI_unitstride_sbrr_C2R_dirReg
                                        ; -- End function
	.section	.AMDGPU.csdata,"",@progbits
; Kernel info:
; codeLenInByte = 12516
; NumSgprs: 28
; NumVgprs: 58
; NumAgprs: 0
; TotalNumVgprs: 58
; ScratchSize: 0
; MemoryBound: 0
; FloatMode: 240
; IeeeMode: 1
; LDSByteSize: 0 bytes/workgroup (compile time only)
; SGPRBlocks: 3
; VGPRBlocks: 7
; NumSGPRsForWavesPerEU: 28
; NumVGPRsForWavesPerEU: 58
; AccumOffset: 60
; Occupancy: 8
; WaveLimiterHint : 1
; COMPUTE_PGM_RSRC2:SCRATCH_EN: 0
; COMPUTE_PGM_RSRC2:USER_SGPR: 2
; COMPUTE_PGM_RSRC2:TRAP_HANDLER: 0
; COMPUTE_PGM_RSRC2:TGID_X_EN: 1
; COMPUTE_PGM_RSRC2:TGID_Y_EN: 0
; COMPUTE_PGM_RSRC2:TGID_Z_EN: 0
; COMPUTE_PGM_RSRC2:TIDIG_COMP_CNT: 0
; COMPUTE_PGM_RSRC3_GFX90A:ACCUM_OFFSET: 14
; COMPUTE_PGM_RSRC3_GFX90A:TG_SPLIT: 0
	.text
	.p2alignl 6, 3212836864
	.fill 256, 4, 3212836864
	.type	__hip_cuid_8e812b282937c2bd,@object ; @__hip_cuid_8e812b282937c2bd
	.section	.bss,"aw",@nobits
	.globl	__hip_cuid_8e812b282937c2bd
__hip_cuid_8e812b282937c2bd:
	.byte	0                               ; 0x0
	.size	__hip_cuid_8e812b282937c2bd, 1

	.ident	"AMD clang version 19.0.0git (https://github.com/RadeonOpenCompute/llvm-project roc-6.4.0 25133 c7fe45cf4b819c5991fe208aaa96edf142730f1d)"
	.section	".note.GNU-stack","",@progbits
	.addrsig
	.addrsig_sym __hip_cuid_8e812b282937c2bd
	.amdgpu_metadata
---
amdhsa.kernels:
  - .agpr_count:     0
    .args:
      - .actual_access:  read_only
        .address_space:  global
        .offset:         0
        .size:           8
        .value_kind:     global_buffer
      - .offset:         8
        .size:           8
        .value_kind:     by_value
      - .actual_access:  read_only
        .address_space:  global
        .offset:         16
        .size:           8
        .value_kind:     global_buffer
      - .actual_access:  read_only
        .address_space:  global
        .offset:         24
        .size:           8
        .value_kind:     global_buffer
      - .offset:         32
        .size:           8
        .value_kind:     by_value
      - .actual_access:  read_only
        .address_space:  global
        .offset:         40
        .size:           8
        .value_kind:     global_buffer
      - .actual_access:  read_only
        .address_space:  global
        .offset:         48
        .size:           8
        .value_kind:     global_buffer
      - .offset:         56
        .size:           4
        .value_kind:     by_value
      - .actual_access:  read_only
        .address_space:  global
        .offset:         64
        .size:           8
        .value_kind:     global_buffer
      - .actual_access:  read_only
        .address_space:  global
        .offset:         72
        .size:           8
        .value_kind:     global_buffer
      - .address_space:  global
        .offset:         80
        .size:           8
        .value_kind:     global_buffer
    .group_segment_fixed_size: 0
    .kernarg_segment_align: 8
    .kernarg_segment_size: 88
    .language:       OpenCL C
    .language_version:
      - 2
      - 0
    .max_flat_workgroup_size: 128
    .name:           fft_rtc_back_len2560_factors_4_4_4_10_4_wgs_128_tpt_128_halfLds_half_ip_CI_unitstride_sbrr_C2R_dirReg
    .private_segment_fixed_size: 0
    .sgpr_count:     28
    .sgpr_spill_count: 0
    .symbol:         fft_rtc_back_len2560_factors_4_4_4_10_4_wgs_128_tpt_128_halfLds_half_ip_CI_unitstride_sbrr_C2R_dirReg.kd
    .uniform_work_group_size: 1
    .uses_dynamic_stack: false
    .vgpr_count:     58
    .vgpr_spill_count: 0
    .wavefront_size: 64
amdhsa.target:   amdgcn-amd-amdhsa--gfx950
amdhsa.version:
  - 1
  - 2
...

	.end_amdgpu_metadata
